;; amdgpu-corpus repo=ROCm/rocFFT kind=compiled arch=gfx950 opt=O3
	.text
	.amdgcn_target "amdgcn-amd-amdhsa--gfx950"
	.amdhsa_code_object_version 6
	.protected	bluestein_single_fwd_len968_dim1_sp_op_CI_CI ; -- Begin function bluestein_single_fwd_len968_dim1_sp_op_CI_CI
	.globl	bluestein_single_fwd_len968_dim1_sp_op_CI_CI
	.p2align	8
	.type	bluestein_single_fwd_len968_dim1_sp_op_CI_CI,@function
bluestein_single_fwd_len968_dim1_sp_op_CI_CI: ; @bluestein_single_fwd_len968_dim1_sp_op_CI_CI
; %bb.0:
	s_load_dwordx4 s[12:15], s[0:1], 0x28
	v_mul_u32_u24_e32 v1, 0x2e9, v0
	v_lshrrev_b32_e32 v2, 16, v1
	v_mov_b32_e32 v71, 0
	v_lshl_add_u32 v80, s2, 1, v2
	v_mov_b32_e32 v81, v71
	s_waitcnt lgkmcnt(0)
	v_cmp_gt_u64_e32 vcc, s[12:13], v[80:81]
	s_and_saveexec_b64 s[2:3], vcc
	s_cbranch_execz .LBB0_31
; %bb.1:
	s_load_dwordx4 s[4:7], s[0:1], 0x18
	s_load_dwordx2 s[12:13], s[0:1], 0x0
	v_mul_lo_u16_e32 v1, 0x58, v2
	v_sub_u16_e32 v70, v0, v1
	v_mov_b32_e32 v4, s14
	s_waitcnt lgkmcnt(0)
	s_load_dwordx4 s[8:11], s[4:5], 0x0
	v_mov_b32_e32 v5, s15
	v_and_b32_e32 v2, 1, v2
	v_mov_b32_e32 v3, 0x1e40
	s_waitcnt lgkmcnt(0)
	v_mad_u64_u32 v[0:1], s[2:3], s10, v80, 0
	v_mov_b32_e32 v6, v1
	v_mad_u64_u32 v[6:7], s[2:3], s11, v80, v[6:7]
	v_mov_b32_e32 v1, v6
	v_mad_u64_u32 v[6:7], s[2:3], s8, v70, 0
	v_mov_b32_e32 v8, v7
	v_mad_u64_u32 v[8:9], s[2:3], s9, v70, v[8:9]
	s_mul_i32 s2, s9, 0x1e4
	s_mul_hi_u32 s3, s8, 0x1e4
	s_mul_hi_u32 s5, s8, 0xfffffe74
	v_mov_b32_e32 v7, v8
	v_lshl_add_u64 v[0:1], v[0:1], 3, v[4:5]
	s_add_i32 s11, s3, s2
	s_mul_i32 s10, s8, 0x1e4
	s_mul_i32 s4, s9, 0xfffffe74
	s_sub_i32 s5, s5, s8
	v_lshl_add_u64 v[0:1], v[6:7], 3, v[0:1]
	s_lshl_b64 s[2:3], s[10:11], 3
	s_add_i32 s15, s5, s4
	s_mul_i32 s14, s8, 0xfffffe74
	global_load_dwordx2 v[4:5], v[0:1], off
	v_lshlrev_b32_e32 v6, 3, v70
	v_mov_b32_e32 v7, v71
	v_lshl_add_u64 v[0:1], v[0:1], 0, s[2:3]
	s_lshl_b64 s[4:5], s[14:15], 3
	v_lshl_add_u64 v[64:65], s[12:13], 0, v[6:7]
	global_load_dwordx2 v[86:87], v6, s[12:13] offset:3872
	global_load_dwordx2 v[88:89], v6, s[12:13]
	v_lshl_add_u64 v[8:9], v[0:1], 0, s[4:5]
	s_movk_i32 s8, 0x1000
	global_load_dwordx2 v[84:85], v6, s[12:13] offset:704
	global_load_dwordx2 v[10:11], v[0:1], off
	v_lshl_add_u64 v[0:1], v[8:9], 0, s[2:3]
	global_load_dwordx2 v[12:13], v[8:9], off
	global_load_dwordx2 v[14:15], v[0:1], off
	v_add_co_u32_e32 v8, vcc, s8, v64
	v_lshl_add_u64 v[0:1], v[0:1], 0, s[4:5]
	s_nop 0
	v_addc_co_u32_e32 v9, vcc, 0, v65, vcc
	global_load_dwordx2 v[82:83], v[8:9], off offset:480
	global_load_dwordx2 v[16:17], v[0:1], off
	global_load_dwordx2 v[78:79], v6, s[12:13] offset:1408
	v_lshl_add_u64 v[0:1], v[0:1], 0, s[2:3]
	global_load_dwordx2 v[18:19], v[0:1], off
	global_load_dwordx2 v[76:77], v[8:9], off offset:1184
	v_lshl_add_u64 v[0:1], v[0:1], 0, s[4:5]
	global_load_dwordx2 v[20:21], v[0:1], off
	global_load_dwordx2 v[74:75], v6, s[12:13] offset:2112
	v_lshl_add_u64 v[0:1], v[0:1], 0, s[2:3]
	global_load_dwordx2 v[22:23], v[0:1], off
	global_load_dwordx2 v[72:73], v[8:9], off offset:1888
	v_lshl_add_u64 v[0:1], v[0:1], 0, s[4:5]
	global_load_dwordx2 v[24:25], v[0:1], off
	global_load_dwordx2 v[68:69], v6, s[12:13] offset:2816
	v_lshl_add_u64 v[0:1], v[0:1], 0, s[2:3]
	global_load_dwordx2 v[66:67], v[8:9], off offset:2592
	global_load_dwordx2 v[26:27], v[0:1], off
	v_cmp_eq_u32_e32 vcc, 1, v2
	s_load_dwordx2 s[8:9], s[0:1], 0x38
	v_cmp_gt_u16_e64 s[2:3], 44, v70
	v_cndmask_b32_e32 v132, 0, v3, vcc
	v_add_u32_e32 v81, v132, v6
	v_add_u32_e32 v2, 0x1000, v81
	s_load_dwordx4 s[4:7], s[6:7], 0x0
	s_waitcnt vmcnt(17)
	v_mul_f32_e32 v3, v4, v89
	v_mul_f32_e32 v6, v5, v89
	v_fma_f32 v7, v5, v88, -v3
	s_waitcnt vmcnt(15)
	v_mul_f32_e32 v3, v10, v87
	v_fmac_f32_e32 v6, v4, v88
	v_mul_f32_e32 v4, v11, v87
	v_fma_f32 v5, v11, v86, -v3
	s_waitcnt vmcnt(14)
	v_mul_f32_e32 v3, v12, v85
	v_fmac_f32_e32 v4, v10, v86
	v_mul_f32_e32 v8, v13, v85
	v_fma_f32 v9, v13, v84, -v3
	s_waitcnt vmcnt(12)
	v_mul_f32_e32 v3, v14, v83
	ds_write_b64 v81, v[4:5] offset:3872
	v_fmac_f32_e32 v8, v12, v84
	v_fma_f32 v5, v15, v82, -v3
	s_waitcnt vmcnt(10)
	v_mul_f32_e32 v3, v16, v79
	v_mul_f32_e32 v4, v15, v83
	ds_write2_b64 v81, v[6:7], v[8:9] offset1:88
	v_fma_f32 v7, v17, v78, -v3
	s_waitcnt vmcnt(8)
	v_mul_f32_e32 v8, v19, v77
	v_mul_f32_e32 v3, v18, v77
	v_fmac_f32_e32 v4, v14, v82
	v_fmac_f32_e32 v8, v18, v76
	v_fma_f32 v9, v19, v76, -v3
	v_mul_f32_e32 v6, v17, v79
	ds_write2_b64 v2, v[4:5], v[8:9] offset0:60 offset1:148
	s_waitcnt vmcnt(6)
	v_mul_f32_e32 v4, v21, v75
	v_mul_f32_e32 v3, v20, v75
	v_fmac_f32_e32 v6, v16, v78
	v_fmac_f32_e32 v4, v20, v74
	v_fma_f32 v5, v21, v74, -v3
	v_add_u32_e32 v3, 0x400, v81
	ds_write2_b64 v3, v[6:7], v[4:5] offset0:48 offset1:136
	s_waitcnt vmcnt(2)
	v_mul_f32_e32 v6, v25, v69
	v_mul_f32_e32 v7, v24, v69
	v_fmac_f32_e32 v6, v24, v68
	v_fma_f32 v7, v25, v68, -v7
	v_mul_f32_e32 v4, v23, v73
	v_mul_f32_e32 v5, v22, v73
	ds_write_b64 v81, v[6:7] offset:2816
	s_waitcnt vmcnt(0)
	v_mul_f32_e32 v6, v27, v67
	v_mul_f32_e32 v7, v26, v67
	v_fmac_f32_e32 v4, v22, v72
	v_fma_f32 v5, v23, v72, -v5
	v_fmac_f32_e32 v6, v26, v66
	v_fma_f32 v7, v27, v66, -v7
	v_add_u32_e32 v20, 0x1400, v81
	ds_write2_b64 v20, v[4:5], v[6:7] offset0:108 offset1:196
	s_and_saveexec_b64 s[16:17], s[2:3]
	s_cbranch_execz .LBB0_3
; %bb.2:
	v_lshl_add_u64 v[0:1], s[14:15], 3, v[0:1]
	v_add_co_u32_e32 v8, vcc, 0x1000, v64
	global_load_dwordx2 v[4:5], v[0:1], off
	global_load_dwordx2 v[6:7], v[64:65], off offset:3520
	v_lshl_add_u64 v[0:1], s[10:11], 3, v[0:1]
	v_addc_co_u32_e32 v9, vcc, 0, v65, vcc
	global_load_dwordx2 v[0:1], v[0:1], off
	s_waitcnt vmcnt(1)
	v_mul_f32_e32 v10, v5, v7
	global_load_dwordx2 v[8:9], v[8:9], off offset:3296
	v_mul_f32_e32 v7, v4, v7
	v_fmac_f32_e32 v10, v4, v6
	v_fma_f32 v11, v5, v6, -v7
	ds_write_b64 v81, v[10:11] offset:3520
	s_waitcnt vmcnt(0)
	v_mul_f32_e32 v4, v1, v9
	v_mul_f32_e32 v5, v0, v9
	v_fmac_f32_e32 v4, v0, v8
	v_fma_f32 v5, v1, v8, -v5
	ds_write_b64 v81, v[4:5] offset:7392
.LBB0_3:
	s_or_b64 exec, exec, s[16:17]
	v_add_u32_e32 v0, 0x800, v81
	s_waitcnt lgkmcnt(0)
	s_barrier
	ds_read2_b64 v[12:15], v81 offset1:88
	ds_read2_b64 v[4:7], v0 offset0:96 offset1:228
	ds_read2_b64 v[16:19], v2 offset0:60 offset1:148
	ds_read2_b64 v[8:11], v3 offset0:48 offset1:136
	ds_read2_b64 v[0:3], v20 offset0:108 offset1:196
                                        ; implicit-def: $vgpr20
                                        ; implicit-def: $vgpr22
	s_and_saveexec_b64 s[10:11], s[2:3]
	s_cbranch_execz .LBB0_5
; %bb.4:
	ds_read_b64 v[20:21], v81 offset:3520
	ds_read_b64 v[22:23], v81 offset:7392
.LBB0_5:
	s_or_b64 exec, exec, s[10:11]
	s_load_dwordx2 s[0:1], s[0:1], 0x8
	s_mov_b64 s[10:11], 0x1b8
	v_lshlrev_b32_e32 v26, 1, v70
	v_lshl_add_u64 v[24:25], v[70:71], 0, s[10:11]
	s_waitcnt lgkmcnt(0)
	v_pk_add_f32 v[30:31], v[12:13], v[6:7] neg_lo:[0,1] neg_hi:[0,1]
	v_pk_add_f32 v[16:17], v[14:15], v[16:17] neg_lo:[0,1] neg_hi:[0,1]
	v_lshl_add_u32 v115, v70, 4, v132
	v_pk_fma_f32 v[28:29], v[12:13], 2.0, v[30:31] op_sel_hi:[1,0,1] neg_lo:[0,0,1] neg_hi:[0,0,1]
	v_add_u32_e32 v25, 0xb0, v26
	v_pk_add_f32 v[18:19], v[8:9], v[18:19] neg_lo:[0,1] neg_hi:[0,1]
	v_pk_add_f32 v[32:33], v[10:11], v[0:1] neg_lo:[0,1] neg_hi:[0,1]
	;; [unrolled: 1-line block ×4, first 2 shown]
	s_barrier
	ds_write_b128 v115, v[28:31]
	v_lshl_add_u32 v116, v25, 3, v132
	v_pk_fma_f32 v[14:15], v[14:15], 2.0, v[16:17] op_sel_hi:[1,0,1] neg_lo:[0,0,1] neg_hi:[0,0,1]
	v_add_u32_e32 v27, 0x160, v26
	v_add_u32_e32 v28, 0x210, v26
	;; [unrolled: 1-line block ×3, first 2 shown]
	v_pk_fma_f32 v[0:1], v[20:21], 2.0, v[2:3] op_sel_hi:[1,0,1] neg_lo:[0,0,1] neg_hi:[0,0,1]
	ds_write_b128 v116, v[14:17]
	v_lshl_add_u32 v118, v27, 3, v132
	v_pk_fma_f32 v[16:17], v[8:9], 2.0, v[18:19] op_sel_hi:[1,0,1] neg_lo:[0,0,1] neg_hi:[0,0,1]
	v_lshl_add_u32 v119, v28, 3, v132
	v_pk_fma_f32 v[30:31], v[10:11], 2.0, v[32:33] op_sel_hi:[1,0,1] neg_lo:[0,0,1] neg_hi:[0,0,1]
	;; [unrolled: 2-line block ×3, first 2 shown]
	v_lshl_add_u32 v117, v24, 4, v132
	ds_write_b128 v118, v[16:19]
	ds_write_b128 v119, v[30:33]
	;; [unrolled: 1-line block ×3, first 2 shown]
	s_and_saveexec_b64 s[10:11], s[2:3]
	s_cbranch_execz .LBB0_7
; %bb.6:
	ds_write_b128 v117, v[0:3]
.LBB0_7:
	s_or_b64 exec, exec, s[10:11]
	v_add_u32_e32 v12, 0x1000, v81
	s_waitcnt lgkmcnt(0)
	s_barrier
	v_add_u32_e32 v4, 0x800, v81
	ds_read2_b64 v[16:19], v12 offset0:60 offset1:148
	v_add_u32_e32 v12, 0x400, v81
	v_add_u32_e32 v20, 0x1400, v81
	ds_read2_b64 v[8:11], v81 offset1:88
	ds_read2_b64 v[4:7], v4 offset0:96 offset1:228
	ds_read2_b64 v[12:15], v12 offset0:48 offset1:136
	;; [unrolled: 1-line block ×3, first 2 shown]
	s_and_saveexec_b64 s[10:11], s[2:3]
	s_cbranch_execz .LBB0_9
; %bb.8:
	ds_read_b64 v[0:1], v81 offset:3520
	ds_read_b64 v[2:3], v81 offset:7392
.LBB0_9:
	s_or_b64 exec, exec, s[10:11]
	v_and_b32_e32 v114, 1, v70
	v_lshlrev_b32_e32 v30, 3, v114
	global_load_dwordx2 v[92:93], v30, s[0:1]
	s_movk_i32 s10, 0xfc
	s_movk_i32 s11, 0x1fc
	;; [unrolled: 1-line block ×3, first 2 shown]
	v_and_or_b32 v30, v26, s10, v114
	v_and_or_b32 v31, v25, s11, v114
	;; [unrolled: 1-line block ×5, first 2 shown]
	v_lshl_add_u32 v125, v30, 3, v132
	v_lshl_add_u32 v124, v31, 3, v132
	;; [unrolled: 1-line block ×5, first 2 shown]
	v_lshlrev_b32_e32 v133, 1, v24
	s_waitcnt lgkmcnt(0)
	s_barrier
	s_waitcnt vmcnt(0)
	v_pk_mul_f32 v[30:31], v[2:3], v[92:93] op_sel:[1,0]
	v_pk_mul_f32 v[32:33], v[6:7], v[92:93] op_sel:[0,1]
	v_pk_mul_f32 v[34:35], v[16:17], v[92:93] op_sel:[0,1]
	v_pk_mul_f32 v[36:37], v[18:19], v[92:93] op_sel:[0,1]
	v_pk_mul_f32 v[38:39], v[20:21], v[92:93] op_sel:[0,1]
	v_pk_mul_f32 v[40:41], v[22:23], v[92:93] op_sel:[0,1]
	v_pk_fma_f32 v[42:43], v[2:3], v[92:93], v[30:31] op_sel:[0,0,1] op_sel_hi:[1,1,0] neg_lo:[0,0,1] neg_hi:[0,0,1]
	v_pk_fma_f32 v[2:3], v[2:3], v[92:93], v[30:31] op_sel:[0,0,1] op_sel_hi:[0,1,0]
	v_pk_fma_f32 v[30:31], v[16:17], v[92:93], v[34:35] op_sel:[0,0,1] op_sel_hi:[1,1,0] neg_lo:[0,0,1] neg_hi:[0,0,1]
	v_pk_fma_f32 v[16:17], v[16:17], v[92:93], v[34:35] op_sel:[0,0,1] op_sel_hi:[1,0,0]
	;; [unrolled: 2-line block ×6, first 2 shown]
	v_mov_b32_e32 v43, v3
	v_mov_b32_e32 v41, v7
	;; [unrolled: 1-line block ×6, first 2 shown]
	v_pk_add_f32 v[22:23], v[0:1], v[42:43] neg_lo:[0,1] neg_hi:[0,1]
	v_pk_add_f32 v[2:3], v[8:9], v[40:41] neg_lo:[0,1] neg_hi:[0,1]
	;; [unrolled: 1-line block ×6, first 2 shown]
	v_pk_fma_f32 v[20:21], v[0:1], 2.0, v[22:23] op_sel_hi:[1,0,1] neg_lo:[0,0,1] neg_hi:[0,0,1]
	v_pk_fma_f32 v[0:1], v[8:9], 2.0, v[2:3] op_sel_hi:[1,0,1] neg_lo:[0,0,1] neg_hi:[0,0,1]
	;; [unrolled: 1-line block ×6, first 2 shown]
	ds_write2_b64 v125, v[0:1], v[2:3] offset1:2
	ds_write2_b64 v124, v[8:9], v[6:7] offset1:2
	;; [unrolled: 1-line block ×5, first 2 shown]
	s_and_saveexec_b64 s[10:11], s[2:3]
	s_cbranch_execz .LBB0_11
; %bb.10:
	v_and_or_b32 v0, v133, s14, v114
	v_lshl_add_u32 v0, v0, 3, v132
	ds_write2_b64 v0, v[20:21], v[22:23] offset1:2
.LBB0_11:
	s_or_b64 exec, exec, s[10:11]
	v_add_u32_e32 v8, 0x1000, v81
	s_waitcnt lgkmcnt(0)
	s_barrier
	v_add_u32_e32 v0, 0x800, v81
	ds_read2_b64 v[12:15], v8 offset0:60 offset1:148
	v_add_u32_e32 v8, 0x400, v81
	v_add_u32_e32 v16, 0x1400, v81
	ds_read2_b64 v[4:7], v81 offset1:88
	ds_read2_b64 v[0:3], v0 offset0:96 offset1:228
	ds_read2_b64 v[8:11], v8 offset0:48 offset1:136
	;; [unrolled: 1-line block ×3, first 2 shown]
	s_and_saveexec_b64 s[10:11], s[2:3]
	s_cbranch_execz .LBB0_13
; %bb.12:
	ds_read_b64 v[20:21], v81 offset:3520
	ds_read_b64 v[22:23], v81 offset:7392
.LBB0_13:
	s_or_b64 exec, exec, s[10:11]
	v_and_b32_e32 v134, 3, v70
	v_lshlrev_b32_e32 v24, 3, v134
	global_load_dwordx2 v[90:91], v24, s[0:1] offset:16
	s_movk_i32 s10, 0xf8
	s_movk_i32 s14, 0x3f8
	v_and_or_b32 v26, v26, s10, v134
	v_and_or_b32 v27, v27, s14, v134
	;; [unrolled: 1-line block ×4, first 2 shown]
	v_lshl_add_u32 v139, v26, 3, v132
	v_lshl_add_u32 v137, v27, 3, v132
	s_movk_i32 s11, 0x1f8
	v_lshl_add_u32 v136, v28, 3, v132
	v_lshl_add_u32 v135, v29, 3, v132
	s_waitcnt lgkmcnt(0)
	v_mov_b32_e32 v24, v23
	v_and_or_b32 v25, v25, s11, v134
	v_lshl_add_u32 v138, v25, 3, v132
	v_mov_b32_e32 v45, 0
	s_barrier
	s_waitcnt vmcnt(0)
	v_pk_mul_f32 v[26:27], v[22:23], v[90:91]
	s_nop 0
	v_mov_b32_e32 v26, v91
	v_pk_mul_f32 v[28:29], v[2:3], v[90:91] op_sel:[0,1]
	v_pk_mul_f32 v[30:31], v[12:13], v[90:91] op_sel:[0,1]
	;; [unrolled: 1-line block ×5, first 2 shown]
	v_mov_b32_e32 v38, v27
	v_pk_mul_f32 v[26:27], v[22:23], v[26:27]
	v_pk_fma_f32 v[40:41], v[2:3], v[90:91], v[28:29] op_sel:[0,0,1] op_sel_hi:[1,1,0] neg_lo:[0,0,1] neg_hi:[0,0,1]
	v_pk_fma_f32 v[2:3], v[2:3], v[90:91], v[28:29] op_sel:[0,0,1] op_sel_hi:[1,0,0]
	v_pk_fma_f32 v[28:29], v[12:13], v[90:91], v[30:31] op_sel:[0,0,1] op_sel_hi:[1,1,0] neg_lo:[0,0,1] neg_hi:[0,0,1]
	v_pk_fma_f32 v[12:13], v[12:13], v[90:91], v[30:31] op_sel:[0,0,1] op_sel_hi:[1,0,0]
	v_pk_fma_f32 v[30:31], v[14:15], v[90:91], v[32:33] op_sel:[0,0,1] op_sel_hi:[1,1,0] neg_lo:[0,0,1] neg_hi:[0,0,1]
	v_pk_fma_f32 v[14:15], v[14:15], v[90:91], v[32:33] op_sel:[0,0,1] op_sel_hi:[1,0,0]
	v_pk_fma_f32 v[32:33], v[16:17], v[90:91], v[34:35] op_sel:[0,0,1] op_sel_hi:[1,1,0] neg_lo:[0,0,1] neg_hi:[0,0,1]
	v_pk_fma_f32 v[16:17], v[16:17], v[90:91], v[34:35] op_sel:[0,0,1] op_sel_hi:[1,0,0]
	v_pk_fma_f32 v[34:35], v[18:19], v[90:91], v[36:37] op_sel:[0,0,1] op_sel_hi:[1,1,0] neg_lo:[0,0,1] neg_hi:[0,0,1]
	v_pk_fma_f32 v[18:19], v[18:19], v[90:91], v[36:37] op_sel:[0,0,1] op_sel_hi:[1,0,0]
	v_pk_fma_f32 v[22:23], v[22:23], v[90:91], v[38:39] neg_lo:[0,0,1] neg_hi:[0,0,1]
	v_pk_fma_f32 v[24:25], v[24:25], v[90:91], v[26:27]
	v_mov_b32_e32 v41, v3
	v_mov_b32_e32 v29, v13
	;; [unrolled: 1-line block ×6, first 2 shown]
	v_pk_add_f32 v[2:3], v[4:5], v[40:41] neg_lo:[0,1] neg_hi:[0,1]
	v_pk_add_f32 v[12:13], v[6:7], v[28:29] neg_lo:[0,1] neg_hi:[0,1]
	;; [unrolled: 1-line block ×6, first 2 shown]
	v_pk_fma_f32 v[4:5], v[4:5], 2.0, v[2:3] op_sel_hi:[1,0,1] neg_lo:[0,0,1] neg_hi:[0,0,1]
	v_pk_fma_f32 v[6:7], v[6:7], 2.0, v[12:13] op_sel_hi:[1,0,1] neg_lo:[0,0,1] neg_hi:[0,0,1]
	v_pk_fma_f32 v[8:9], v[8:9], 2.0, v[14:15] op_sel_hi:[1,0,1] neg_lo:[0,0,1] neg_hi:[0,0,1]
	v_pk_fma_f32 v[10:11], v[10:11], 2.0, v[16:17] op_sel_hi:[1,0,1] neg_lo:[0,0,1] neg_hi:[0,0,1]
	v_pk_fma_f32 v[0:1], v[0:1], 2.0, v[18:19] op_sel_hi:[1,0,1] neg_lo:[0,0,1] neg_hi:[0,0,1]
	ds_write2_b64 v139, v[4:5], v[2:3] offset1:4
	ds_write2_b64 v138, v[6:7], v[12:13] offset1:4
	;; [unrolled: 1-line block ×5, first 2 shown]
	s_and_saveexec_b64 s[10:11], s[2:3]
	s_cbranch_execz .LBB0_15
; %bb.14:
	v_and_or_b32 v0, v133, s14, v134
	v_lshl_add_u32 v2, v0, 3, v132
	v_pk_fma_f32 v[0:1], v[20:21], 2.0, v[60:61] op_sel_hi:[1,0,1] neg_lo:[0,0,1] neg_hi:[0,0,1]
	ds_write2_b64 v2, v[0:1], v[60:61] offset1:4
.LBB0_15:
	s_or_b64 exec, exec, s[10:11]
	v_and_b32_e32 v44, 7, v70
	s_movk_i32 s33, 0x50
	v_mov_b64_e32 v[24:25], s[0:1]
	v_mad_u64_u32 v[20:21], s[0:1], v44, s33, v[24:25]
	s_waitcnt lgkmcnt(0)
	s_barrier
	global_load_dwordx4 v[0:3], v[20:21], off offset:48
	global_load_dwordx4 v[16:19], v[20:21], off offset:64
	;; [unrolled: 1-line block ×5, first 2 shown]
	ds_read2_b64 v[20:23], v81 offset1:88
	v_lshrrev_b32_e32 v30, 3, v70
	v_add_u32_e32 v127, 0x800, v81
	v_add_u32_e32 v126, 0x400, v81
	;; [unrolled: 1-line block ×4, first 2 shown]
	ds_read_b64 v[42:43], v81 offset:7040
	ds_read2_b64 v[26:29], v126 offset0:48 offset1:136
	v_mul_u32_u24_e32 v46, 0x58, v30
	ds_read2_b64 v[30:33], v127 offset0:96 offset1:184
	ds_read2_b64 v[34:37], v128 offset0:16 offset1:104
	;; [unrolled: 1-line block ×3, first 2 shown]
	v_or_b32_e32 v44, v46, v44
	v_lshl_add_u32 v71, v44, 3, v132
	s_mov_b32 s10, 0xbf0a6770
	s_mov_b32 s11, 0x3f575c64
	;; [unrolled: 1-line block ×20, first 2 shown]
	s_waitcnt lgkmcnt(0)
	s_barrier
	s_mov_b32 s46, 0x3e903f40
	s_mov_b32 s28, s23
	;; [unrolled: 1-line block ×16, first 2 shown]
	s_waitcnt vmcnt(4)
	v_pk_mul_f32 v[46:47], v[22:23], v[0:1] op_sel:[1,0] op_sel_hi:[0,1]
	v_mov_b32_e32 v44, v1
	v_mov_b32_e32 v46, v3
	s_waitcnt vmcnt(3)
	v_pk_mul_f32 v[48:49], v[28:29], v[16:17] op_sel:[0,1]
	v_mov_b32_e32 v50, v19
	s_waitcnt vmcnt(2)
	v_pk_mul_f32 v[52:53], v[32:33], v[12:13] op_sel:[0,1]
	;; [unrolled: 3-line block ×4, first 2 shown]
	v_mov_b32_e32 v94, v11
	v_pk_mul_f32 v[96:97], v[22:23], v[44:45] op_sel:[1,0] op_sel_hi:[0,1]
	v_mov_b32_e32 v44, v47
	v_pk_mul_f32 v[46:47], v[26:27], v[46:47] op_sel_hi:[1,0]
	v_pk_fma_f32 v[98:99], v[28:29], v[16:17], v[48:49] op_sel:[0,0,1] op_sel_hi:[1,1,0] neg_lo:[0,0,1] neg_hi:[0,0,1]
	v_pk_fma_f32 v[28:29], v[28:29], v[16:17], v[48:49] op_sel:[0,0,1] op_sel_hi:[1,0,0]
	v_pk_mul_f32 v[48:49], v[30:31], v[50:51] op_sel_hi:[1,0]
	v_pk_fma_f32 v[50:51], v[32:33], v[12:13], v[52:53] op_sel:[0,0,1] op_sel_hi:[1,1,0] neg_lo:[0,0,1] neg_hi:[0,0,1]
	v_pk_fma_f32 v[32:33], v[32:33], v[12:13], v[52:53] op_sel:[0,0,1] op_sel_hi:[1,0,0]
	;; [unrolled: 3-line block ×4, first 2 shown]
	v_pk_mul_f32 v[62:63], v[42:43], v[94:95] op_sel_hi:[1,0]
	v_pk_fma_f32 v[94:95], v[22:23], v[0:1], v[96:97] neg_lo:[0,0,1] neg_hi:[0,0,1]
	v_pk_fma_f32 v[96:97], v[22:23], v[0:1], v[44:45] op_sel:[1,0,0] op_sel_hi:[0,1,1]
	v_pk_fma_f32 v[100:101], v[26:27], v[2:3], v[46:47] op_sel:[0,0,1] op_sel_hi:[1,1,0] neg_lo:[0,0,1] neg_hi:[0,0,1]
	v_pk_fma_f32 v[22:23], v[26:27], v[2:3], v[46:47] op_sel:[0,0,1] op_sel_hi:[1,0,0]
	v_mov_b32_e32 v99, v29
	v_pk_fma_f32 v[26:27], v[30:31], v[18:19], v[48:49] op_sel:[0,0,1] op_sel_hi:[1,1,0] neg_lo:[0,0,1] neg_hi:[0,0,1]
	v_pk_fma_f32 v[28:29], v[30:31], v[18:19], v[48:49] op_sel:[0,0,1] op_sel_hi:[1,0,0]
	v_mov_b32_e32 v51, v33
	;; [unrolled: 3-line block ×3, first 2 shown]
	v_pk_fma_f32 v[34:35], v[38:39], v[6:7], v[56:57] op_sel:[0,0,1] op_sel_hi:[1,1,0] neg_lo:[0,0,1] neg_hi:[0,0,1]
	v_pk_fma_f32 v[36:37], v[38:39], v[6:7], v[56:57] op_sel:[0,0,1] op_sel_hi:[1,0,0]
	v_pk_fma_f32 v[38:39], v[42:43], v[10:11], v[62:63] op_sel:[0,0,1] op_sel_hi:[1,0,0] neg_lo:[0,0,1] neg_hi:[0,0,1]
	v_mov_b32_e32 v101, v23
	v_mov_b32_e32 v22, v94
	;; [unrolled: 1-line block ×5, first 2 shown]
	v_pk_add_f32 v[52:53], v[94:95], v[38:39]
	v_pk_add_f32 v[36:37], v[94:95], v[38:39] neg_lo:[0,1] neg_hi:[0,1]
	v_pk_add_f32 v[38:39], v[20:21], v[22:23]
	v_mov_b32_e32 v27, v29
	v_pk_add_f32 v[38:39], v[38:39], v[100:101]
	v_mov_b32_e32 v31, v33
	;; [unrolled: 2-line block ×3, first 2 shown]
	v_pk_add_f32 v[38:39], v[38:39], v[26:27]
	v_pk_fma_f32 v[40:41], v[42:43], v[10:11], v[62:63] op_sel:[0,0,1] op_sel_hi:[1,0,0]
	v_pk_add_f32 v[38:39], v[38:39], v[50:51]
	v_mov_b32_e32 v33, v96
	v_pk_add_f32 v[38:39], v[38:39], v[30:31]
	v_mov_b32_e32 v32, v41
	;; [unrolled: 2-line block ×3, first 2 shown]
	v_pk_add_f32 v[38:39], v[38:39], v[34:35]
	v_pk_add_f32 v[22:23], v[32:33], v[40:41]
	v_pk_add_f32 v[56:57], v[96:97], v[32:33] neg_lo:[0,1] neg_hi:[0,1]
	v_pk_add_f32 v[38:39], v[38:39], v[58:59]
	v_mov_b32_e32 v53, v36
	v_pk_add_f32 v[62:63], v[100:101], v[58:59]
	v_pk_add_f32 v[32:33], v[100:101], v[58:59] neg_lo:[0,1] neg_hi:[0,1]
	v_pk_add_f32 v[58:59], v[38:39], v[28:29]
	v_mov_b32_e32 v22, v56
	v_pk_mul_f32 v[28:29], v[52:53], s[0:1]
	v_pk_add_f32 v[94:95], v[98:99], v[34:35]
	v_pk_add_f32 v[38:39], v[98:99], v[34:35] neg_lo:[0,1] neg_hi:[0,1]
	v_pk_add_f32 v[96:97], v[26:27], v[54:55]
	v_pk_add_f32 v[46:47], v[26:27], v[54:55] neg_lo:[0,1] neg_hi:[0,1]
	;; [unrolled: 2-line block ×3, first 2 shown]
	v_pk_fma_f32 v[30:31], v[56:57], s[10:11], v[28:29] neg_lo:[1,0,0] neg_hi:[1,0,0]
	v_pk_fma_f32 v[26:27], v[22:23], s[10:11], v[28:29]
	s_nop 0
	v_mov_b32_e32 v31, v27
	v_pk_add_f32 v[36:37], v[20:21], v[30:31]
	v_mov_b32_e32 v31, v63
	v_mov_b32_e32 v63, v32
	v_mov_b32_e32 v30, v33
	v_pk_mul_f32 v[34:35], v[62:63], s[36:37]
	v_pk_mul_f32 v[106:107], v[62:63], s[16:17]
	v_pk_fma_f32 v[40:41], v[30:31], s[20:21], v[34:35] neg_lo:[1,0,0] neg_hi:[1,0,0]
	v_pk_fma_f32 v[32:33], v[30:31], s[20:21], v[34:35]
	v_pk_fma_f32 v[108:109], v[30:31], s[24:25], v[106:107] neg_lo:[1,0,0] neg_hi:[1,0,0]
	v_mov_b32_e32 v41, v33
	v_pk_add_f32 v[42:43], v[40:41], v[36:37]
	v_mov_b32_e32 v37, v95
	v_mov_b32_e32 v95, v38
	;; [unrolled: 1-line block ×3, first 2 shown]
	v_pk_mul_f32 v[40:41], v[94:95], s[30:31]
	v_pk_fma_f32 v[110:111], v[30:31], s[24:25], v[106:107]
	v_pk_fma_f32 v[48:49], v[36:37], s[18:19], v[40:41] neg_lo:[1,0,0] neg_hi:[1,0,0]
	v_pk_fma_f32 v[38:39], v[36:37], s[18:19], v[40:41]
	v_mov_b32_e32 v109, v111
	v_mov_b32_e32 v49, v39
	v_pk_add_f32 v[50:51], v[48:49], v[42:43]
	v_mov_b32_e32 v43, v97
	v_mov_b32_e32 v97, v46
	;; [unrolled: 1-line block ×3, first 2 shown]
	v_pk_mul_f32 v[48:49], v[96:97], s[16:17]
	v_pk_mul_f32 v[152:153], v[62:63], s[28:29]
	v_pk_fma_f32 v[100:101], v[42:43], s[24:25], v[48:49] neg_lo:[1,0,0] neg_hi:[1,0,0]
	v_pk_fma_f32 v[46:47], v[42:43], s[24:25], v[48:49]
	v_pk_fma_f32 v[154:155], v[30:31], s[46:47], v[152:153] neg_lo:[1,0,0] neg_hi:[1,0,0]
	v_mov_b32_e32 v101, v47
	v_pk_add_f32 v[100:101], v[100:101], v[50:51]
	v_mov_b32_e32 v51, v55
	v_mov_b32_e32 v55, v98
	;; [unrolled: 1-line block ×3, first 2 shown]
	v_pk_mul_f32 v[98:99], v[54:55], s[14:15]
	v_pk_fma_f32 v[156:157], v[30:31], s[46:47], v[152:153]
	v_pk_fma_f32 v[102:103], v[50:51], s[22:23], v[98:99] neg_lo:[1,0,0] neg_hi:[1,0,0]
	v_pk_fma_f32 v[104:105], v[50:51], s[22:23], v[98:99]
	v_mov_b32_e32 v155, v157
	v_mov_b32_e32 v103, v105
	v_pk_add_f32 v[100:101], v[102:103], v[100:101]
	ds_write2_b64 v71, v[58:59], v[100:101] offset1:8
	v_pk_mul_f32 v[58:59], v[52:53], s[36:37]
	v_pk_mul_f32 v[170:171], v[62:63], s[26:27]
	v_pk_fma_f32 v[100:101], v[56:57], s[20:21], v[58:59] neg_lo:[1,0,0] neg_hi:[1,0,0]
	v_pk_fma_f32 v[102:103], v[22:23], s[20:21], v[58:59]
	v_pk_fma_f32 v[172:173], v[30:31], s[40:41], v[170:171] neg_lo:[1,0,0] neg_hi:[1,0,0]
	v_mov_b32_e32 v101, v103
	v_pk_add_f32 v[100:101], v[20:21], v[100:101]
	v_pk_fma_f32 v[174:175], v[30:31], s[40:41], v[170:171]
	v_pk_add_f32 v[100:101], v[108:109], v[100:101]
	v_pk_mul_f32 v[108:109], v[94:95], s[28:29]
	v_mov_b32_e32 v173, v175
	v_pk_fma_f32 v[112:113], v[36:37], s[46:47], v[108:109] neg_lo:[1,0,0] neg_hi:[1,0,0]
	v_pk_fma_f32 v[130:131], v[36:37], s[46:47], v[108:109]
	v_pk_mul_f32 v[62:63], v[62:63], s[34:35]
	v_mov_b32_e32 v113, v131
	v_pk_add_f32 v[100:101], v[112:113], v[100:101]
	v_pk_mul_f32 v[112:113], v[96:97], s[26:27]
	v_pk_fma_f32 v[188:189], v[30:31], s[44:45], v[62:63] neg_lo:[1,0,0] neg_hi:[1,0,0]
	v_pk_fma_f32 v[140:141], v[42:43], s[40:41], v[112:113] neg_lo:[1,0,0] neg_hi:[1,0,0]
	v_pk_fma_f32 v[142:143], v[42:43], s[40:41], v[112:113]
	v_pk_fma_f32 v[190:191], v[30:31], s[44:45], v[62:63]
	v_mov_b32_e32 v141, v143
	v_pk_add_f32 v[100:101], v[140:141], v[100:101]
	v_pk_mul_f32 v[140:141], v[54:55], s[34:35]
	v_mov_b32_e32 v189, v191
	v_pk_fma_f32 v[144:145], v[50:51], s[44:45], v[140:141] neg_lo:[1,0,0] neg_hi:[1,0,0]
	v_pk_fma_f32 v[146:147], v[50:51], s[44:45], v[140:141]
	s_nop 0
	v_mov_b32_e32 v145, v147
	v_pk_add_f32 v[100:101], v[144:145], v[100:101]
	v_pk_mul_f32 v[144:145], v[52:53], s[30:31]
	s_nop 0
	v_pk_fma_f32 v[148:149], v[56:57], s[18:19], v[144:145] neg_lo:[1,0,0] neg_hi:[1,0,0]
	v_pk_fma_f32 v[150:151], v[22:23], s[18:19], v[144:145]
	s_nop 0
	v_mov_b32_e32 v149, v151
	v_pk_add_f32 v[148:149], v[20:21], v[148:149]
	s_nop 0
	v_pk_add_f32 v[148:149], v[154:155], v[148:149]
	v_pk_mul_f32 v[154:155], v[94:95], s[38:39]
	s_nop 0
	v_pk_fma_f32 v[158:159], v[36:37], s[42:43], v[154:155] neg_lo:[1,0,0] neg_hi:[1,0,0]
	v_pk_fma_f32 v[160:161], v[36:37], s[42:43], v[154:155]
	s_nop 0
	v_mov_b32_e32 v159, v161
	v_pk_add_f32 v[148:149], v[158:159], v[148:149]
	v_pk_mul_f32 v[158:159], v[96:97], s[0:1]
	s_nop 0
	v_pk_fma_f32 v[162:163], v[42:43], s[10:11], v[158:159] neg_lo:[1,0,0] neg_hi:[1,0,0]
	v_pk_fma_f32 v[164:165], v[42:43], s[10:11], v[158:159]
	s_nop 0
	v_mov_b32_e32 v163, v165
	;; [unrolled: 7-line block ×3, first 2 shown]
	v_pk_add_f32 v[148:149], v[166:167], v[148:149]
	ds_write2_b64 v71, v[100:101], v[148:149] offset0:16 offset1:24
	v_pk_mul_f32 v[100:101], v[52:53], s[16:17]
	v_pk_mul_f32 v[52:53], v[52:53], s[14:15]
	v_pk_fma_f32 v[148:149], v[56:57], s[24:25], v[100:101] neg_lo:[1,0,0] neg_hi:[1,0,0]
	v_pk_fma_f32 v[166:167], v[22:23], s[24:25], v[100:101]
	v_pk_fma_f32 v[56:57], v[56:57], s[22:23], v[52:53] neg_lo:[1,0,0] neg_hi:[1,0,0]
	v_mov_b32_e32 v149, v167
	v_pk_add_f32 v[148:149], v[20:21], v[148:149]
	s_nop 0
	v_pk_add_f32 v[148:149], v[172:173], v[148:149]
	v_pk_mul_f32 v[172:173], v[94:95], s[0:1]
	v_pk_mul_f32 v[94:95], v[94:95], s[16:17]
	v_pk_fma_f32 v[176:177], v[36:37], s[10:11], v[172:173] neg_lo:[1,0,0] neg_hi:[1,0,0]
	v_pk_fma_f32 v[178:179], v[36:37], s[10:11], v[172:173]
	v_pk_fma_f32 v[192:193], v[36:37], s[24:25], v[94:95]
	v_mov_b32_e32 v177, v179
	v_pk_add_f32 v[148:149], v[176:177], v[148:149]
	v_pk_mul_f32 v[176:177], v[96:97], s[14:15]
	v_pk_mul_f32 v[96:97], v[96:97], s[38:39]
	v_pk_fma_f32 v[180:181], v[42:43], s[22:23], v[176:177] neg_lo:[1,0,0] neg_hi:[1,0,0]
	v_pk_fma_f32 v[182:183], v[42:43], s[22:23], v[176:177]
	v_pk_fma_f32 v[194:195], v[42:43], s[42:43], v[96:97]
	v_mov_b32_e32 v181, v183
	;; [unrolled: 7-line block ×3, first 2 shown]
	v_pk_add_f32 v[148:149], v[184:185], v[148:149]
	v_pk_fma_f32 v[184:185], v[22:23], s[22:23], v[52:53]
	v_pk_fma_f32 v[52:53], v[22:23], s[22:23], v[52:53] neg_lo:[0,0,1] neg_hi:[0,0,1]
	v_mov_b32_e32 v57, v185
	v_pk_add_f32 v[56:57], v[20:21], v[56:57]
	v_mov_b32_e32 v185, v53
	v_pk_add_f32 v[56:57], v[188:189], v[56:57]
	v_pk_fma_f32 v[188:189], v[36:37], s[24:25], v[94:95] neg_lo:[1,0,0] neg_hi:[1,0,0]
	v_pk_fma_f32 v[52:53], v[30:31], s[44:45], v[62:63] neg_lo:[0,0,1] neg_hi:[0,0,1]
	v_mov_b32_e32 v189, v193
	v_pk_add_f32 v[56:57], v[188:189], v[56:57]
	v_pk_fma_f32 v[188:189], v[42:43], s[42:43], v[96:97] neg_lo:[1,0,0] neg_hi:[1,0,0]
	v_mov_b32_e32 v191, v53
	v_mov_b32_e32 v189, v195
	v_pk_add_f32 v[56:57], v[188:189], v[56:57]
	v_pk_fma_f32 v[188:189], v[50:51], s[18:19], v[54:55] neg_lo:[1,0,0] neg_hi:[1,0,0]
	v_pk_fma_f32 v[54:55], v[50:51], s[18:19], v[54:55] neg_lo:[0,0,1] neg_hi:[0,0,1]
	v_mov_b32_e32 v189, v197
	v_pk_add_f32 v[56:57], v[188:189], v[56:57]
	ds_write2_b64 v71, v[148:149], v[56:57] offset0:32 offset1:40
	v_pk_fma_f32 v[56:57], v[36:37], s[24:25], v[94:95] neg_lo:[0,0,1] neg_hi:[0,0,1]
	v_mov_b32_e32 v197, v55
	v_pk_fma_f32 v[54:55], v[22:23], s[24:25], v[100:101] neg_lo:[0,0,1] neg_hi:[0,0,1]
	v_mov_b32_e32 v193, v57
	;; [unrolled: 2-line block ×3, first 2 shown]
	v_pk_fma_f32 v[54:55], v[30:31], s[40:41], v[170:171] neg_lo:[0,0,1] neg_hi:[0,0,1]
	v_pk_add_f32 v[52:53], v[20:21], v[184:185]
	v_mov_b32_e32 v195, v57
	v_mov_b32_e32 v175, v55
	v_pk_add_f32 v[54:55], v[20:21], v[166:167]
	v_pk_fma_f32 v[56:57], v[36:37], s[10:11], v[172:173] neg_lo:[0,0,1] neg_hi:[0,0,1]
	v_pk_add_f32 v[52:53], v[190:191], v[52:53]
	v_pk_add_f32 v[54:55], v[174:175], v[54:55]
	v_mov_b32_e32 v179, v57
	v_pk_fma_f32 v[56:57], v[42:43], s[22:23], v[176:177] neg_lo:[0,0,1] neg_hi:[0,0,1]
	v_pk_add_f32 v[52:53], v[192:193], v[52:53]
	v_pk_add_f32 v[54:55], v[178:179], v[54:55]
	v_mov_b32_e32 v183, v57
	;; [unrolled: 4-line block ×3, first 2 shown]
	v_pk_add_f32 v[52:53], v[196:197], v[52:53]
	v_pk_add_f32 v[54:55], v[186:187], v[54:55]
	ds_write2_b64 v71, v[52:53], v[54:55] offset0:48 offset1:56
	v_pk_fma_f32 v[54:55], v[36:37], s[42:43], v[154:155] neg_lo:[0,0,1] neg_hi:[0,0,1]
	v_pk_fma_f32 v[52:53], v[22:23], s[18:19], v[144:145] neg_lo:[0,0,1] neg_hi:[0,0,1]
	v_mov_b32_e32 v161, v55
	v_pk_fma_f32 v[54:55], v[42:43], s[10:11], v[158:159] neg_lo:[0,0,1] neg_hi:[0,0,1]
	v_mov_b32_e32 v151, v53
	v_mov_b32_e32 v165, v55
	v_pk_fma_f32 v[54:55], v[50:51], s[24:25], v[162:163] neg_lo:[0,0,1] neg_hi:[0,0,1]
	v_pk_fma_f32 v[52:53], v[30:31], s[46:47], v[152:153] neg_lo:[0,0,1] neg_hi:[0,0,1]
	v_mov_b32_e32 v169, v55
	v_pk_fma_f32 v[54:55], v[22:23], s[20:21], v[58:59] neg_lo:[0,0,1] neg_hi:[0,0,1]
	v_pk_fma_f32 v[22:23], v[22:23], s[10:11], v[28:29] neg_lo:[0,0,1] neg_hi:[0,0,1]
	v_mov_b32_e32 v103, v55
	v_pk_fma_f32 v[56:57], v[30:31], s[24:25], v[106:107] neg_lo:[0,0,1] neg_hi:[0,0,1]
	v_mov_b32_e32 v27, v23
	;; [unrolled: 2-line block ×3, first 2 shown]
	v_pk_add_f32 v[52:53], v[20:21], v[150:151]
	v_pk_add_f32 v[54:55], v[20:21], v[102:103]
	v_mov_b32_e32 v111, v57
	v_pk_fma_f32 v[56:57], v[36:37], s[46:47], v[108:109] neg_lo:[0,0,1] neg_hi:[0,0,1]
	v_pk_add_f32 v[20:21], v[20:21], v[26:27]
	v_mov_b32_e32 v33, v23
	v_pk_fma_f32 v[22:23], v[36:37], s[18:19], v[40:41] neg_lo:[0,0,1] neg_hi:[0,0,1]
	v_pk_add_f32 v[52:53], v[156:157], v[52:53]
	v_pk_add_f32 v[54:55], v[110:111], v[54:55]
	v_mov_b32_e32 v131, v57
	v_pk_fma_f32 v[56:57], v[42:43], s[40:41], v[112:113] neg_lo:[0,0,1] neg_hi:[0,0,1]
	v_pk_add_f32 v[20:21], v[32:33], v[20:21]
	v_mov_b32_e32 v39, v23
	v_pk_fma_f32 v[22:23], v[42:43], s[24:25], v[48:49] neg_lo:[0,0,1] neg_hi:[0,0,1]
	;; [unrolled: 7-line block ×3, first 2 shown]
	v_pk_add_f32 v[52:53], v[164:165], v[52:53]
	v_pk_add_f32 v[54:55], v[142:143], v[54:55]
	v_mov_b32_e32 v147, v57
	v_pk_add_f32 v[20:21], v[46:47], v[20:21]
	v_mov_b32_e32 v105, v23
	v_pk_add_f32 v[52:53], v[168:169], v[52:53]
	v_pk_add_f32 v[54:55], v[146:147], v[54:55]
	;; [unrolled: 1-line block ×3, first 2 shown]
	v_mad_u64_u32 v[40:41], s[48:49], v70, s33, v[24:25]
	ds_write2_b64 v71, v[52:53], v[54:55] offset0:64 offset1:72
	ds_write_b64 v71, v[20:21] offset:640
	s_waitcnt lgkmcnt(0)
	s_barrier
	global_load_dwordx4 v[20:23], v[40:41], off offset:688
	global_load_dwordx4 v[36:39], v[40:41], off offset:704
	;; [unrolled: 1-line block ×5, first 2 shown]
	ds_read2_b64 v[40:43], v126 offset0:48 offset1:136
	ds_read2_b64 v[46:49], v127 offset0:96 offset1:184
	;; [unrolled: 1-line block ×4, first 2 shown]
	ds_read_b64 v[58:59], v81 offset:7040
	s_waitcnt vmcnt(4)
	v_mov_b32_e32 v44, v23
	s_waitcnt lgkmcnt(4)
	v_pk_mul_f32 v[62:63], v[40:41], v[44:45] op_sel_hi:[1,0]
	s_waitcnt vmcnt(0)
	v_mov_b32_e32 v44, v31
	v_pk_fma_f32 v[94:95], v[40:41], v[22:23], v[62:63] op_sel:[0,0,1] op_sel_hi:[1,0,0] neg_lo:[0,0,1] neg_hi:[0,0,1]
	v_pk_fma_f32 v[98:99], v[40:41], v[22:23], v[62:63] op_sel:[0,0,1] op_sel_hi:[1,0,0]
	v_pk_mul_f32 v[40:41], v[42:43], v[36:37] op_sel:[0,1]
	s_nop 0
	v_pk_fma_f32 v[102:103], v[42:43], v[36:37], v[40:41] op_sel:[0,0,1] op_sel_hi:[1,0,0] neg_lo:[0,0,1] neg_hi:[0,0,1]
	v_pk_fma_f32 v[104:105], v[42:43], v[36:37], v[40:41] op_sel:[0,0,1] op_sel_hi:[1,0,0]
	v_mov_b32_e32 v40, v39
	s_waitcnt lgkmcnt(3)
	v_pk_mul_f32 v[40:41], v[46:47], v[40:41] op_sel_hi:[1,0]
	s_nop 0
	v_pk_fma_f32 v[106:107], v[46:47], v[38:39], v[40:41] op_sel:[0,0,1] op_sel_hi:[1,0,0] neg_lo:[0,0,1] neg_hi:[0,0,1]
	v_pk_fma_f32 v[108:109], v[46:47], v[38:39], v[40:41] op_sel:[0,0,1] op_sel_hi:[1,0,0]
	v_pk_mul_f32 v[40:41], v[48:49], v[32:33] op_sel:[0,1]
	s_nop 0
	v_pk_fma_f32 v[110:111], v[48:49], v[32:33], v[40:41] op_sel:[0,0,1] op_sel_hi:[1,0,0] neg_lo:[0,0,1] neg_hi:[0,0,1]
	v_pk_fma_f32 v[112:113], v[48:49], v[32:33], v[40:41] op_sel:[0,0,1] op_sel_hi:[1,0,0]
	v_mov_b32_e32 v40, v35
	s_waitcnt lgkmcnt(2)
	v_pk_mul_f32 v[40:41], v[50:51], v[40:41] op_sel_hi:[1,0]
	s_nop 0
	;; [unrolled: 10-line block ×3, first 2 shown]
	v_pk_fma_f32 v[48:49], v[54:55], v[26:27], v[40:41] op_sel:[0,0,1] op_sel_hi:[1,0,0] neg_lo:[0,0,1] neg_hi:[0,0,1]
	v_pk_fma_f32 v[54:55], v[54:55], v[26:27], v[40:41] op_sel:[0,0,1] op_sel_hi:[1,0,0]
	v_pk_mul_f32 v[40:41], v[56:57], v[28:29] op_sel:[0,1]
	s_nop 0
	v_pk_fma_f32 v[46:47], v[56:57], v[28:29], v[40:41] op_sel:[0,0,1] op_sel_hi:[1,0,0] neg_lo:[0,0,1] neg_hi:[0,0,1]
	v_pk_fma_f32 v[52:53], v[56:57], v[28:29], v[40:41] op_sel:[0,0,1] op_sel_hi:[1,0,0]
	ds_read2_b64 v[40:43], v81 offset1:88
	s_waitcnt lgkmcnt(1)
	v_pk_mul_f32 v[56:57], v[58:59], v[44:45] op_sel_hi:[1,0]
	v_mov_b32_e32 v44, v21
	v_pk_fma_f32 v[96:97], v[58:59], v[30:31], v[56:57] op_sel:[0,0,1] op_sel_hi:[1,0,0] neg_lo:[0,0,1] neg_hi:[0,0,1]
	v_pk_fma_f32 v[56:57], v[58:59], v[30:31], v[56:57] op_sel:[0,0,1] op_sel_hi:[1,0,0]
	s_waitcnt lgkmcnt(0)
	v_pk_mul_f32 v[62:63], v[42:43], v[20:21] op_sel:[1,0] op_sel_hi:[0,1]
	v_pk_mul_f32 v[58:59], v[42:43], v[44:45] op_sel:[1,0] op_sel_hi:[0,1]
	v_mov_b32_e32 v44, v63
	v_pk_fma_f32 v[58:59], v[42:43], v[20:21], v[58:59] neg_lo:[0,0,1] neg_hi:[0,0,1]
	v_pk_fma_f32 v[42:43], v[42:43], v[20:21], v[44:45] op_sel:[1,0,0] op_sel_hi:[0,1,1]
	v_mov_b32_e32 v100, v58
	v_mov_b32_e32 v101, v42
	;; [unrolled: 1-line block ×4, first 2 shown]
	v_pk_add_f32 v[100:101], v[40:41], v[100:101]
	v_lshlrev_b32_e32 v44, 3, v70
	v_pk_add_f32 v[62:63], v[100:101], v[62:63]
	v_mov_b32_e32 v100, v102
	v_mov_b32_e32 v101, v105
	v_pk_add_f32 v[62:63], v[62:63], v[100:101]
	v_mov_b32_e32 v100, v106
	v_mov_b32_e32 v101, v109
	;; [unrolled: 3-line block ×8, first 2 shown]
	v_pk_add_f32 v[144:145], v[62:63], v[100:101]
	v_pk_add_f32 v[62:63], v[58:59], v[96:97]
	v_pk_add_f32 v[58:59], v[58:59], v[96:97] neg_lo:[0,1] neg_hi:[0,1]
	v_pk_add_f32 v[100:101], v[42:43], v[56:57] op_sel:[0,1] neg_lo:[0,1] neg_hi:[0,1]
	v_pk_add_f32 v[96:97], v[42:43], v[56:57] op_sel_hi:[0,1]
	v_pk_add_f32 v[42:43], v[94:95], v[46:47]
	v_pk_add_f32 v[46:47], v[94:95], v[46:47] neg_lo:[0,1] neg_hi:[0,1]
	v_mov_b32_e32 v63, v58
	v_mov_b32_e32 v43, v46
	v_pk_add_f32 v[46:47], v[102:103], v[48:49]
	v_pk_add_f32 v[48:49], v[102:103], v[48:49] neg_lo:[0,1] neg_hi:[0,1]
	v_mov_b32_e32 v96, v100
	v_mov_b32_e32 v47, v48
	v_pk_add_f32 v[48:49], v[106:107], v[50:51]
	v_pk_add_f32 v[50:51], v[106:107], v[50:51] neg_lo:[0,1] neg_hi:[0,1]
	v_pk_add_f32 v[58:59], v[110:111], v[130:131] neg_lo:[0,1] neg_hi:[0,1]
	v_mov_b32_e32 v49, v50
	v_pk_add_f32 v[50:51], v[110:111], v[130:131]
	v_pk_mul_f32 v[130:131], v[62:63], s[0:1]
	v_pk_add_f32 v[94:95], v[98:99], v[52:53] neg_lo:[0,1] neg_hi:[0,1]
	v_pk_add_f32 v[52:53], v[98:99], v[52:53]
	v_pk_add_f32 v[98:99], v[104:105], v[54:55] neg_lo:[0,1] neg_hi:[0,1]
	v_pk_add_f32 v[54:55], v[104:105], v[54:55]
	v_mov_b32_e32 v51, v58
	v_pk_add_f32 v[104:105], v[112:113], v[140:141] neg_lo:[0,1] neg_hi:[0,1]
	v_pk_add_f32 v[58:59], v[112:113], v[140:141]
	v_pk_fma_f32 v[106:107], v[100:101], s[10:11], v[130:131] neg_lo:[1,0,0] neg_hi:[1,0,0]
	v_pk_fma_f32 v[140:141], v[96:97], s[10:11], v[130:131]
	v_mov_b32_e32 v52, v95
	v_mov_b32_e32 v107, v141
	v_pk_add_f32 v[110:111], v[40:41], v[106:107]
	v_pk_mul_f32 v[106:107], v[42:43], s[36:37]
	v_pk_add_f32 v[102:103], v[108:109], v[142:143] neg_lo:[0,1] neg_hi:[0,1]
	v_pk_add_f32 v[56:57], v[108:109], v[142:143]
	v_pk_fma_f32 v[112:113], v[94:95], s[20:21], v[106:107] op_sel:[1,0,0] neg_lo:[1,0,0] neg_hi:[1,0,0]
	v_pk_fma_f32 v[108:109], v[52:53], s[20:21], v[106:107]
	v_mov_b32_e32 v54, v99
	v_mov_b32_e32 v113, v109
	v_pk_add_f32 v[142:143], v[112:113], v[110:111]
	v_pk_mul_f32 v[110:111], v[46:47], s[30:31]
	v_mov_b32_e32 v56, v103
	v_pk_fma_f32 v[146:147], v[98:99], s[18:19], v[110:111] op_sel:[1,0,0] neg_lo:[1,0,0] neg_hi:[1,0,0]
	v_pk_fma_f32 v[112:113], v[54:55], s[18:19], v[110:111]
	v_mov_b32_e32 v58, v105
	v_mov_b32_e32 v147, v113
	v_pk_add_f32 v[142:143], v[146:147], v[142:143]
	v_pk_mul_f32 v[146:147], v[48:49], s[16:17]
	v_pk_mul_f32 v[156:157], v[52:53], s[24:25]
	v_pk_fma_f32 v[148:149], v[102:103], s[24:25], v[146:147] op_sel:[1,0,0] neg_lo:[1,0,0] neg_hi:[1,0,0]
	v_pk_fma_f32 v[150:151], v[56:57], s[24:25], v[146:147]
	v_pk_fma_f32 v[158:159], v[42:43], s[16:17], v[156:157]
	v_mov_b32_e32 v149, v151
	v_pk_add_f32 v[142:143], v[148:149], v[142:143]
	v_pk_mul_f32 v[148:149], v[50:51], s[14:15]
	v_pk_fma_f32 v[160:161], v[42:43], s[16:17], v[156:157] neg_lo:[0,0,1] neg_hi:[0,0,1]
	v_pk_fma_f32 v[152:153], v[104:105], s[22:23], v[148:149] op_sel:[1,0,0] neg_lo:[1,0,0] neg_hi:[1,0,0]
	v_pk_fma_f32 v[154:155], v[58:59], s[22:23], v[148:149]
	v_mov_b32_e32 v161, v159
	v_mov_b32_e32 v153, v155
	v_pk_add_f32 v[142:143], v[152:153], v[142:143]
	ds_write2_b64 v81, v[144:145], v[142:143] offset1:88
	v_pk_mul_f32 v[142:143], v[96:97], s[20:21]
	v_pk_mul_f32 v[178:179], v[52:53], s[46:47]
	v_pk_fma_f32 v[144:145], v[62:63], s[36:37], v[142:143]
	v_pk_fma_f32 v[152:153], v[62:63], s[36:37], v[142:143] neg_lo:[0,0,1] neg_hi:[0,0,1]
	v_pk_fma_f32 v[180:181], v[42:43], s[28:29], v[178:179]
	v_mov_b32_e32 v153, v145
	v_pk_add_f32 v[152:153], v[40:41], v[152:153]
	v_pk_fma_f32 v[182:183], v[42:43], s[28:29], v[178:179] neg_lo:[0,0,1] neg_hi:[0,0,1]
	v_pk_add_f32 v[152:153], v[160:161], v[152:153]
	v_pk_mul_f32 v[160:161], v[54:55], s[46:47]
	v_mov_b32_e32 v183, v181
	v_pk_fma_f32 v[162:163], v[46:47], s[28:29], v[160:161]
	v_pk_fma_f32 v[164:165], v[46:47], s[28:29], v[160:161] neg_lo:[0,0,1] neg_hi:[0,0,1]
	v_pk_fma_f32 v[130:131], v[96:97], s[10:11], v[130:131] neg_lo:[0,0,1] neg_hi:[0,0,1]
	v_mov_b32_e32 v165, v163
	v_pk_add_f32 v[152:153], v[164:165], v[152:153]
	v_pk_mul_f32 v[164:165], v[56:57], s[40:41]
	v_mov_b32_e32 v141, v131
	v_pk_fma_f32 v[166:167], v[48:49], s[26:27], v[164:165]
	v_pk_fma_f32 v[168:169], v[48:49], s[26:27], v[164:165] neg_lo:[0,0,1] neg_hi:[0,0,1]
	v_pk_mul_f32 v[130:131], v[62:63], s[14:15]
	v_mov_b32_e32 v169, v167
	v_pk_add_f32 v[152:153], v[168:169], v[152:153]
	v_pk_mul_f32 v[168:169], v[58:59], s[44:45]
	v_pk_fma_f32 v[100:101], v[100:101], s[22:23], v[130:131] neg_lo:[1,0,0] neg_hi:[1,0,0]
	v_pk_fma_f32 v[170:171], v[50:51], s[34:35], v[168:169]
	v_pk_fma_f32 v[172:173], v[50:51], s[34:35], v[168:169] neg_lo:[0,0,1] neg_hi:[0,0,1]
	v_pk_fma_f32 v[142:143], v[62:63], s[36:37], v[142:143] neg_lo:[1,0,0] neg_hi:[1,0,0]
	v_mov_b32_e32 v173, v171
	v_pk_add_f32 v[152:153], v[172:173], v[152:153]
	v_pk_mul_f32 v[172:173], v[96:97], s[18:19]
	v_mov_b32_e32 v142, v144
	v_pk_fma_f32 v[174:175], v[62:63], s[30:31], v[172:173]
	v_pk_fma_f32 v[176:177], v[62:63], s[30:31], v[172:173] neg_lo:[0,0,1] neg_hi:[0,0,1]
	v_pk_add_f32 v[142:143], v[40:41], v[142:143]
	v_mov_b32_e32 v177, v175
	v_pk_add_f32 v[176:177], v[40:41], v[176:177]
	v_lshl_add_u64 v[44:45], s[12:13], 0, v[44:45]
	v_pk_add_f32 v[176:177], v[182:183], v[176:177]
	v_pk_mul_f32 v[182:183], v[54:55], s[42:43]
	s_nop 0
	v_pk_fma_f32 v[184:185], v[46:47], s[38:39], v[182:183]
	v_pk_fma_f32 v[186:187], v[46:47], s[38:39], v[182:183] neg_lo:[0,0,1] neg_hi:[0,0,1]
	s_nop 0
	v_mov_b32_e32 v187, v185
	v_pk_add_f32 v[176:177], v[186:187], v[176:177]
	v_pk_mul_f32 v[186:187], v[56:57], s[10:11]
	s_nop 0
	v_pk_fma_f32 v[188:189], v[48:49], s[0:1], v[186:187]
	v_pk_fma_f32 v[190:191], v[48:49], s[0:1], v[186:187] neg_lo:[0,0,1] neg_hi:[0,0,1]
	s_nop 0
	v_mov_b32_e32 v191, v189
	;; [unrolled: 7-line block ×3, first 2 shown]
	v_pk_add_f32 v[176:177], v[194:195], v[176:177]
	ds_write2_b64 v126, v[152:153], v[176:177] offset0:48 offset1:136
	v_pk_fma_f32 v[152:153], v[96:97], s[22:23], v[130:131]
	v_pk_fma_f32 v[130:131], v[96:97], s[22:23], v[130:131] neg_lo:[0,0,1] neg_hi:[0,0,1]
	v_pk_mul_f32 v[96:97], v[96:97], s[24:25]
	v_mov_b32_e32 v101, v153
	v_mov_b32_e32 v153, v131
	v_pk_fma_f32 v[130:131], v[62:63], s[30:31], v[172:173] neg_lo:[1,0,0] neg_hi:[1,0,0]
	v_pk_fma_f32 v[144:145], v[62:63], s[16:17], v[96:97]
	v_pk_fma_f32 v[172:173], v[62:63], s[16:17], v[96:97] neg_lo:[1,0,0] neg_hi:[1,0,0]
	v_pk_fma_f32 v[62:63], v[62:63], s[16:17], v[96:97] neg_lo:[0,0,1] neg_hi:[0,0,1]
	v_mov_b32_e32 v130, v174
	v_mov_b32_e32 v172, v144
	;; [unrolled: 1-line block ×3, first 2 shown]
	v_pk_add_f32 v[96:97], v[40:41], v[100:101]
	v_pk_add_f32 v[100:101], v[40:41], v[140:141]
	;; [unrolled: 1-line block ×3, first 2 shown]
	v_pk_mul_f32 v[152:153], v[42:43], s[34:35]
	v_pk_add_f32 v[144:145], v[40:41], v[172:173]
	v_pk_add_f32 v[130:131], v[40:41], v[130:131]
	;; [unrolled: 1-line block ×3, first 2 shown]
	v_pk_fma_f32 v[62:63], v[94:95], s[44:45], v[152:153] op_sel:[1,0,0] neg_lo:[1,0,0] neg_hi:[1,0,0]
	v_pk_fma_f32 v[94:95], v[52:53], s[44:45], v[152:153]
	s_nop 0
	v_mov_b32_e32 v63, v95
	v_pk_add_f32 v[62:63], v[62:63], v[96:97]
	v_pk_mul_f32 v[96:97], v[46:47], s[16:17]
	s_nop 0
	v_pk_fma_f32 v[98:99], v[98:99], s[24:25], v[96:97] op_sel:[1,0,0] neg_lo:[1,0,0] neg_hi:[1,0,0]
	v_pk_fma_f32 v[172:173], v[54:55], s[24:25], v[96:97]
	v_pk_fma_f32 v[96:97], v[54:55], s[24:25], v[96:97] neg_lo:[0,0,1] neg_hi:[0,0,1]
	v_mov_b32_e32 v99, v173
	v_pk_add_f32 v[62:63], v[98:99], v[62:63]
	v_pk_mul_f32 v[98:99], v[48:49], s[38:39]
	v_mov_b32_e32 v173, v97
	v_pk_fma_f32 v[102:103], v[102:103], s[42:43], v[98:99] op_sel:[1,0,0] neg_lo:[1,0,0] neg_hi:[1,0,0]
	v_pk_fma_f32 v[174:175], v[56:57], s[42:43], v[98:99]
	v_pk_fma_f32 v[96:97], v[56:57], s[42:43], v[98:99] neg_lo:[0,0,1] neg_hi:[0,0,1]
	v_mov_b32_e32 v103, v175
	v_pk_add_f32 v[62:63], v[102:103], v[62:63]
	v_pk_mul_f32 v[102:103], v[50:51], s[30:31]
	v_mov_b32_e32 v175, v97
	v_pk_fma_f32 v[104:105], v[104:105], s[18:19], v[102:103] op_sel:[1,0,0] neg_lo:[1,0,0] neg_hi:[1,0,0]
	v_pk_fma_f32 v[176:177], v[58:59], s[18:19], v[102:103]
	v_pk_fma_f32 v[96:97], v[58:59], s[18:19], v[102:103] neg_lo:[0,0,1] neg_hi:[0,0,1]
	v_mov_b32_e32 v105, v177
	v_pk_add_f32 v[104:105], v[104:105], v[62:63]
	v_pk_fma_f32 v[62:63], v[52:53], s[20:21], v[106:107] neg_lo:[0,0,1] neg_hi:[0,0,1]
	v_mov_b32_e32 v177, v97
	v_mov_b32_e32 v109, v63
	v_pk_add_f32 v[62:63], v[108:109], v[100:101]
	v_pk_fma_f32 v[100:101], v[54:55], s[18:19], v[110:111] neg_lo:[0,0,1] neg_hi:[0,0,1]
	v_pk_mul_f32 v[54:55], v[54:55], s[10:11]
	v_mov_b32_e32 v113, v101
	v_pk_fma_f32 v[100:101], v[56:57], s[24:25], v[146:147] neg_lo:[0,0,1] neg_hi:[0,0,1]
	v_pk_fma_f32 v[102:103], v[46:47], s[0:1], v[54:55] neg_lo:[1,0,0] neg_hi:[1,0,0]
	v_mov_b32_e32 v151, v101
	v_pk_fma_f32 v[100:101], v[58:59], s[22:23], v[148:149] neg_lo:[0,0,1] neg_hi:[0,0,1]
	v_pk_mul_f32 v[56:57], v[56:57], s[22:23]
	v_mov_b32_e32 v155, v101
	v_pk_fma_f32 v[100:101], v[52:53], s[44:45], v[152:153] neg_lo:[0,0,1] neg_hi:[0,0,1]
	v_pk_mul_f32 v[52:53], v[52:53], s[40:41]
	v_mov_b32_e32 v95, v101
	v_pk_fma_f32 v[96:97], v[42:43], s[26:27], v[52:53]
	v_pk_fma_f32 v[98:99], v[42:43], s[26:27], v[52:53] neg_lo:[1,0,0] neg_hi:[1,0,0]
	v_pk_fma_f32 v[100:101], v[46:47], s[0:1], v[54:55]
	v_mov_b32_e32 v98, v96
	v_pk_add_f32 v[98:99], v[98:99], v[144:145]
	v_mov_b32_e32 v102, v100
	v_pk_add_f32 v[98:99], v[102:103], v[98:99]
	v_pk_fma_f32 v[102:103], v[48:49], s[14:15], v[56:57]
	v_pk_fma_f32 v[106:107], v[48:49], s[14:15], v[56:57] neg_lo:[1,0,0] neg_hi:[1,0,0]
	v_pk_mul_f32 v[58:59], v[58:59], s[42:43]
	v_mov_b32_e32 v106, v102
	v_pk_add_f32 v[98:99], v[106:107], v[98:99]
	v_pk_fma_f32 v[106:107], v[50:51], s[38:39], v[58:59]
	v_pk_fma_f32 v[108:109], v[50:51], s[38:39], v[58:59] neg_lo:[1,0,0] neg_hi:[1,0,0]
	v_pk_fma_f32 v[110:111], v[46:47], s[38:39], v[182:183] neg_lo:[1,0,0] neg_hi:[1,0,0]
	v_mov_b32_e32 v108, v106
	v_pk_add_f32 v[98:99], v[108:109], v[98:99]
	v_pk_fma_f32 v[108:109], v[42:43], s[28:29], v[178:179] neg_lo:[1,0,0] neg_hi:[1,0,0]
	v_mov_b32_e32 v110, v184
	v_mov_b32_e32 v108, v180
	v_pk_add_f32 v[108:109], v[108:109], v[130:131]
	v_pk_add_f32 v[62:63], v[112:113], v[62:63]
	;; [unrolled: 1-line block ×3, first 2 shown]
	v_pk_fma_f32 v[110:111], v[48:49], s[0:1], v[186:187] neg_lo:[1,0,0] neg_hi:[1,0,0]
	v_pk_fma_f32 v[112:113], v[46:47], s[28:29], v[160:161] neg_lo:[1,0,0] neg_hi:[1,0,0]
	v_mov_b32_e32 v110, v188
	v_pk_add_f32 v[108:109], v[110:111], v[108:109]
	v_pk_fma_f32 v[110:111], v[50:51], s[16:17], v[190:191] neg_lo:[1,0,0] neg_hi:[1,0,0]
	v_mov_b32_e32 v112, v162
	v_mov_b32_e32 v110, v192
	v_pk_add_f32 v[108:109], v[110:111], v[108:109]
	v_pk_fma_f32 v[110:111], v[42:43], s[16:17], v[156:157] neg_lo:[1,0,0] neg_hi:[1,0,0]
	v_pk_fma_f32 v[42:43], v[42:43], s[26:27], v[52:53] neg_lo:[0,0,1] neg_hi:[0,0,1]
	v_mov_b32_e32 v110, v158
	v_mov_b32_e32 v43, v97
	v_pk_add_f32 v[40:41], v[42:43], v[40:41]
	v_pk_fma_f32 v[42:43], v[46:47], s[0:1], v[54:55] neg_lo:[0,0,1] neg_hi:[0,0,1]
	v_pk_add_f32 v[110:111], v[110:111], v[142:143]
	v_mov_b32_e32 v43, v101
	v_pk_add_f32 v[40:41], v[42:43], v[40:41]
	v_pk_fma_f32 v[42:43], v[48:49], s[14:15], v[56:57] neg_lo:[0,0,1] neg_hi:[0,0,1]
	v_pk_add_f32 v[110:111], v[112:113], v[110:111]
	v_pk_fma_f32 v[112:113], v[48:49], s[26:27], v[164:165] neg_lo:[1,0,0] neg_hi:[1,0,0]
	v_mov_b32_e32 v43, v103
	v_pk_add_f32 v[94:95], v[94:95], v[140:141]
	v_mov_b32_e32 v112, v166
	v_pk_add_f32 v[40:41], v[42:43], v[40:41]
	v_pk_fma_f32 v[42:43], v[50:51], s[38:39], v[58:59] neg_lo:[0,0,1] neg_hi:[0,0,1]
	v_pk_add_f32 v[94:95], v[172:173], v[94:95]
	v_pk_add_f32 v[110:111], v[112:113], v[110:111]
	v_pk_fma_f32 v[112:113], v[50:51], s[34:35], v[168:169] neg_lo:[1,0,0] neg_hi:[1,0,0]
	v_mov_b32_e32 v43, v107
	v_pk_add_f32 v[62:63], v[150:151], v[62:63]
	v_pk_add_f32 v[94:95], v[174:175], v[94:95]
	v_mov_b32_e32 v112, v170
	s_movk_i32 s10, 0x1000
	v_pk_add_f32 v[40:41], v[42:43], v[40:41]
	v_pk_add_f32 v[62:63], v[154:155], v[62:63]
	;; [unrolled: 1-line block ×4, first 2 shown]
	ds_write2_b64 v127, v[40:41], v[104:105] offset0:96 offset1:184
	ds_write2_b64 v128, v[94:95], v[98:99] offset0:16 offset1:104
	;; [unrolled: 1-line block ×3, first 2 shown]
	ds_write_b64 v81, v[62:63] offset:7040
	v_add_co_u32_e32 v40, vcc, s10, v44
	s_waitcnt lgkmcnt(0)
	s_nop 0
	v_addc_co_u32_e32 v41, vcc, 0, v45, vcc
	s_barrier
	global_load_dwordx2 v[50:51], v[40:41], off offset:3648
	s_mov_b64 s[0:1], 0x1e40
	v_lshl_add_u64 v[40:41], v[44:45], 0, s[0:1]
	s_movk_i32 s0, 0x3000
	v_add_co_u32_e32 v42, vcc, s0, v44
	s_nop 1
	v_addc_co_u32_e32 v43, vcc, 0, v45, vcc
	global_load_dwordx2 v[52:53], v[42:43], off offset:32
	global_load_dwordx2 v[54:55], v[42:43], off offset:736
	;; [unrolled: 1-line block ×9, first 2 shown]
	ds_read2_b64 v[42:45], v81 offset1:88
	ds_read2_b64 v[46:49], v127 offset0:96 offset1:228
	s_waitcnt vmcnt(9) lgkmcnt(1)
	v_mul_f32_e32 v104, v43, v51
	v_fma_f32 v104, v42, v50, -v104
	v_mul_f32_e32 v105, v42, v51
	s_waitcnt vmcnt(6) lgkmcnt(0)
	v_mul_f32_e32 v42, v49, v57
	v_fmac_f32_e32 v105, v43, v50
	v_fma_f32 v106, v48, v56, -v42
	v_mul_f32_e32 v107, v48, v57
	s_waitcnt vmcnt(5)
	v_mul_f32_e32 v42, v45, v59
	v_mul_f32_e32 v43, v44, v59
	v_fmac_f32_e32 v107, v49, v56
	v_fma_f32 v42, v44, v58, -v42
	ds_read2_b64 v[48:51], v128 offset0:60 offset1:148
	v_fmac_f32_e32 v43, v45, v58
	ds_write2_b64 v81, v[104:105], v[42:43] offset1:88
	ds_read2_b64 v[42:45], v126 offset0:48 offset1:136
	s_waitcnt lgkmcnt(2)
	v_mul_f32_e32 v56, v49, v53
	v_fma_f32 v56, v48, v52, -v56
	v_mul_f32_e32 v57, v48, v53
	s_waitcnt vmcnt(4) lgkmcnt(0)
	v_mul_f32_e32 v48, v43, v95
	v_mul_f32_e32 v53, v42, v95
	v_fmac_f32_e32 v57, v49, v52
	v_fma_f32 v52, v42, v94, -v48
	v_fmac_f32_e32 v53, v43, v94
	v_mul_f32_e32 v42, v51, v55
	v_mul_f32_e32 v43, v50, v55
	v_fma_f32 v42, v50, v54, -v42
	v_fmac_f32_e32 v43, v51, v54
	ds_read2_b64 v[48:51], v129 offset0:108 offset1:196
	ds_write2_b64 v128, v[56:57], v[42:43] offset0:60 offset1:148
	s_waitcnt vmcnt(3)
	v_mul_f32_e32 v42, v45, v97
	v_mul_f32_e32 v43, v44, v97
	v_fma_f32 v42, v44, v96, -v42
	v_fmac_f32_e32 v43, v45, v96
	s_waitcnt vmcnt(1)
	v_mul_f32_e32 v44, v47, v101
	v_mul_f32_e32 v45, v46, v101
	v_fma_f32 v44, v46, v100, -v44
	v_fmac_f32_e32 v45, v47, v100
	ds_write2_b64 v126, v[52:53], v[42:43] offset0:48 offset1:136
	s_waitcnt lgkmcnt(2)
	v_mul_f32_e32 v42, v49, v99
	v_mul_f32_e32 v43, v48, v99
	ds_write2_b64 v127, v[44:45], v[106:107] offset0:96 offset1:228
	s_waitcnt vmcnt(0)
	v_mul_f32_e32 v44, v51, v103
	v_mul_f32_e32 v45, v50, v103
	v_fma_f32 v42, v48, v98, -v42
	v_fmac_f32_e32 v43, v49, v98
	v_fma_f32 v44, v50, v102, -v44
	v_fmac_f32_e32 v45, v51, v102
	ds_write2_b64 v129, v[42:43], v[44:45] offset0:108 offset1:196
	s_and_saveexec_b64 s[0:1], s[2:3]
	s_cbranch_execz .LBB0_17
; %bb.16:
	global_load_dwordx2 v[42:43], v[40:41], off offset:3520
	v_add_co_u32_e32 v40, vcc, 0x1000, v40
	s_nop 1
	v_addc_co_u32_e32 v41, vcc, 0, v41, vcc
	global_load_dwordx2 v[40:41], v[40:41], off offset:3296
	ds_read_b64 v[44:45], v81 offset:3520
	ds_read_b64 v[46:47], v81 offset:7392
	s_waitcnt vmcnt(1) lgkmcnt(1)
	v_mul_f32_e32 v48, v45, v43
	v_mul_f32_e32 v49, v44, v43
	v_fma_f32 v48, v44, v42, -v48
	v_fmac_f32_e32 v49, v45, v42
	ds_write_b64 v81, v[48:49] offset:3520
	s_waitcnt vmcnt(0) lgkmcnt(1)
	v_mul_f32_e32 v42, v47, v41
	v_mul_f32_e32 v43, v46, v41
	v_fma_f32 v42, v46, v40, -v42
	v_fmac_f32_e32 v43, v47, v40
	ds_write_b64 v81, v[42:43] offset:7392
.LBB0_17:
	s_or_b64 exec, exec, s[0:1]
	s_waitcnt lgkmcnt(0)
	s_barrier
	ds_read2_b64 v[52:55], v81 offset1:88
	ds_read2_b64 v[44:47], v127 offset0:96 offset1:228
	ds_read2_b64 v[56:59], v128 offset0:60 offset1:148
	;; [unrolled: 1-line block ×4, first 2 shown]
	s_and_saveexec_b64 s[0:1], s[2:3]
	s_cbranch_execz .LBB0_19
; %bb.18:
	ds_read_b64 v[62:63], v81 offset:3520
	ds_read_b64 v[60:61], v81 offset:7392
.LBB0_19:
	s_or_b64 exec, exec, s[0:1]
	s_waitcnt lgkmcnt(3)
	v_pk_add_f32 v[96:97], v[52:53], v[46:47] neg_lo:[0,1] neg_hi:[0,1]
	s_waitcnt lgkmcnt(2)
	v_pk_add_f32 v[56:57], v[54:55], v[56:57] neg_lo:[0,1] neg_hi:[0,1]
	;; [unrolled: 2-line block ×4, first 2 shown]
	v_pk_add_f32 v[46:47], v[44:45], v[42:43] neg_lo:[0,1] neg_hi:[0,1]
	v_pk_add_f32 v[42:43], v[62:63], v[60:61] neg_lo:[0,1] neg_hi:[0,1]
	v_pk_fma_f32 v[94:95], v[52:53], 2.0, v[96:97] op_sel_hi:[1,0,1] neg_lo:[0,0,1] neg_hi:[0,0,1]
	v_pk_fma_f32 v[54:55], v[54:55], 2.0, v[56:57] op_sel_hi:[1,0,1] neg_lo:[0,0,1] neg_hi:[0,0,1]
	;; [unrolled: 1-line block ×3, first 2 shown]
	s_barrier
	ds_write_b128 v115, v[94:97]
	ds_write_b128 v116, v[54:57]
	v_pk_fma_f32 v[56:57], v[48:49], 2.0, v[58:59] op_sel_hi:[1,0,1] neg_lo:[0,0,1] neg_hi:[0,0,1]
	v_pk_fma_f32 v[96:97], v[50:51], 2.0, v[98:99] op_sel_hi:[1,0,1] neg_lo:[0,0,1] neg_hi:[0,0,1]
	;; [unrolled: 1-line block ×3, first 2 shown]
	ds_write_b128 v118, v[56:59]
	ds_write_b128 v119, v[96:99]
	;; [unrolled: 1-line block ×3, first 2 shown]
	s_and_saveexec_b64 s[0:1], s[2:3]
	s_cbranch_execz .LBB0_21
; %bb.20:
	ds_write_b128 v117, v[40:43]
.LBB0_21:
	s_or_b64 exec, exec, s[0:1]
	v_add_u32_e32 v48, 0x1000, v81
	s_waitcnt lgkmcnt(0)
	s_barrier
	ds_read2_b64 v[60:63], v48 offset0:60 offset1:148
	v_add_u32_e32 v48, 0x400, v81
	v_add_u32_e32 v44, 0x800, v81
	ds_read2_b64 v[52:55], v48 offset0:48 offset1:136
	v_add_u32_e32 v48, 0x1400, v81
	ds_read2_b64 v[56:59], v81 offset1:88
	ds_read2_b64 v[44:47], v44 offset0:96 offset1:228
	ds_read2_b64 v[48:51], v48 offset0:108 offset1:196
	v_mov_b32_e32 v94, v92
	v_mov_b32_e32 v95, v92
	;; [unrolled: 1-line block ×4, first 2 shown]
	s_and_saveexec_b64 s[0:1], s[2:3]
	s_cbranch_execz .LBB0_23
; %bb.22:
	ds_read_b64 v[40:41], v81 offset:3520
	ds_read_b64 v[42:43], v81 offset:7392
.LBB0_23:
	s_or_b64 exec, exec, s[0:1]
	s_waitcnt lgkmcnt(0)
	v_pk_mul_f32 v[98:99], v[92:93], v[42:43] op_sel:[0,1]
	s_nop 0
	v_pk_fma_f32 v[100:101], v[92:93], v[42:43], v[98:99] op_sel:[0,0,1] op_sel_hi:[1,1,0]
	v_pk_fma_f32 v[42:43], v[92:93], v[42:43], v[98:99] op_sel:[0,0,1] op_sel_hi:[1,0,0] neg_lo:[1,0,0] neg_hi:[1,0,0]
	s_barrier
	v_mov_b32_e32 v101, v43
	v_pk_add_f32 v[108:109], v[40:41], v[100:101] neg_lo:[0,1] neg_hi:[0,1]
	s_nop 0
	v_pk_fma_f32 v[106:107], v[40:41], 2.0, v[108:109] op_sel_hi:[1,0,1] neg_lo:[0,0,1] neg_hi:[0,0,1]
	v_pk_mul_f32 v[40:41], v[96:97], v[46:47]
	s_nop 0
	v_pk_fma_f32 v[42:43], v[94:95], v[46:47], v[40:41] op_sel:[0,0,1] op_sel_hi:[1,1,0]
	v_pk_fma_f32 v[40:41], v[94:95], v[46:47], v[40:41] op_sel:[0,0,1] op_sel_hi:[1,1,0] neg_lo:[0,0,1] neg_hi:[0,0,1]
	s_nop 0
	v_mov_b32_e32 v43, v41
	v_pk_add_f32 v[40:41], v[56:57], v[42:43] neg_lo:[0,1] neg_hi:[0,1]
	s_nop 0
	v_pk_fma_f32 v[42:43], v[56:57], 2.0, v[40:41] op_sel_hi:[1,0,1] neg_lo:[0,0,1] neg_hi:[0,0,1]
	ds_write2_b64 v125, v[42:43], v[40:41] offset1:2
	v_pk_mul_f32 v[40:41], v[96:97], v[60:61]
	s_nop 0
	v_pk_fma_f32 v[42:43], v[94:95], v[60:61], v[40:41] op_sel:[0,0,1] op_sel_hi:[1,1,0]
	v_pk_fma_f32 v[40:41], v[94:95], v[60:61], v[40:41] op_sel:[0,0,1] op_sel_hi:[1,1,0] neg_lo:[0,0,1] neg_hi:[0,0,1]
	s_nop 0
	v_mov_b32_e32 v43, v41
	v_pk_add_f32 v[40:41], v[58:59], v[42:43] neg_lo:[0,1] neg_hi:[0,1]
	s_nop 0
	v_pk_fma_f32 v[42:43], v[58:59], 2.0, v[40:41] op_sel_hi:[1,0,1] neg_lo:[0,0,1] neg_hi:[0,0,1]
	ds_write2_b64 v124, v[42:43], v[40:41] offset1:2
	;; [unrolled: 10-line block ×5, first 2 shown]
	s_and_saveexec_b64 s[0:1], s[2:3]
	s_cbranch_execz .LBB0_25
; %bb.24:
	s_movk_i32 s10, 0x3fc
	v_and_or_b32 v40, v133, s10, v114
	v_lshl_add_u32 v40, v40, 3, v132
	ds_write2_b64 v40, v[106:107], v[108:109] offset1:2
.LBB0_25:
	s_or_b64 exec, exec, s[0:1]
	v_add_u32_e32 v44, 0x1000, v81
	s_waitcnt lgkmcnt(0)
	s_barrier
	ds_read2_b64 v[56:59], v44 offset0:60 offset1:148
	v_add_u32_e32 v44, 0x400, v81
	v_add_u32_e32 v40, 0x800, v81
	ds_read2_b64 v[48:51], v44 offset0:48 offset1:136
	v_add_u32_e32 v44, 0x1400, v81
	ds_read2_b64 v[52:55], v81 offset1:88
	ds_read2_b64 v[40:43], v40 offset0:96 offset1:228
	ds_read2_b64 v[44:47], v44 offset0:108 offset1:196
	v_mov_b32_e32 v128, v90
	v_mov_b32_e32 v129, v90
	;; [unrolled: 1-line block ×4, first 2 shown]
	s_and_saveexec_b64 s[0:1], s[2:3]
	s_cbranch_execz .LBB0_27
; %bb.26:
	ds_read_b64 v[106:107], v81 offset:3520
	ds_read_b64 v[108:109], v81 offset:7392
.LBB0_27:
	s_or_b64 exec, exec, s[0:1]
	s_waitcnt lgkmcnt(1)
	v_pk_mul_f32 v[140:141], v[130:131], v[42:43]
	s_waitcnt lgkmcnt(0)
	v_pk_fma_f32 v[142:143], v[128:129], v[42:43], v[140:141] op_sel:[0,0,1] op_sel_hi:[1,1,0]
	v_pk_fma_f32 v[42:43], v[128:129], v[42:43], v[140:141] op_sel:[0,0,1] op_sel_hi:[1,1,0] neg_lo:[0,0,1] neg_hi:[0,0,1]
	s_barrier
	v_mov_b32_e32 v143, v43
	v_pk_add_f32 v[42:43], v[52:53], v[142:143] neg_lo:[0,1] neg_hi:[0,1]
	s_nop 0
	v_pk_fma_f32 v[52:53], v[52:53], 2.0, v[42:43] op_sel_hi:[1,0,1] neg_lo:[0,0,1] neg_hi:[0,0,1]
	ds_write2_b64 v139, v[52:53], v[42:43] offset1:4
	v_pk_mul_f32 v[42:43], v[130:131], v[56:57]
	v_mov_b32_e32 v126, v2
	v_pk_fma_f32 v[52:53], v[128:129], v[56:57], v[42:43] op_sel:[0,0,1] op_sel_hi:[1,1,0]
	v_pk_fma_f32 v[42:43], v[128:129], v[56:57], v[42:43] op_sel:[0,0,1] op_sel_hi:[1,1,0] neg_lo:[0,0,1] neg_hi:[0,0,1]
	v_mov_b32_e32 v127, v2
	v_mov_b32_e32 v53, v43
	v_pk_add_f32 v[42:43], v[54:55], v[52:53] neg_lo:[0,1] neg_hi:[0,1]
	v_mov_b32_e32 v2, v3
	v_pk_fma_f32 v[52:53], v[54:55], 2.0, v[42:43] op_sel_hi:[1,0,1] neg_lo:[0,0,1] neg_hi:[0,0,1]
	ds_write2_b64 v138, v[52:53], v[42:43] offset1:4
	v_pk_mul_f32 v[42:43], v[130:131], v[58:59]
	v_mov_b32_e32 v124, v16
	v_pk_fma_f32 v[52:53], v[128:129], v[58:59], v[42:43] op_sel:[0,0,1] op_sel_hi:[1,1,0]
	v_pk_fma_f32 v[42:43], v[128:129], v[58:59], v[42:43] op_sel:[0,0,1] op_sel_hi:[1,1,0] neg_lo:[0,0,1] neg_hi:[0,0,1]
	v_mov_b32_e32 v125, v16
	v_mov_b32_e32 v53, v43
	v_pk_add_f32 v[42:43], v[48:49], v[52:53] neg_lo:[0,1] neg_hi:[0,1]
	v_mov_b32_e32 v16, v17
	;; [unrolled: 10-line block ×4, first 2 shown]
	v_mov_b32_e32 v118, v14
	v_mov_b32_e32 v119, v14
	;; [unrolled: 1-line block ×42, first 2 shown]
	v_pk_fma_f32 v[40:41], v[40:41], 2.0, v[42:43] op_sel_hi:[1,0,1] neg_lo:[0,0,1] neg_hi:[0,0,1]
	ds_write2_b64 v135, v[40:41], v[42:43] offset1:4
	s_and_saveexec_b64 s[0:1], s[2:3]
	s_cbranch_execz .LBB0_29
; %bb.28:
	s_movk_i32 s10, 0x3f8
	v_pk_mul_f32 v[40:41], v[90:91], v[108:109] op_sel:[0,1]
	v_and_or_b32 v42, v133, s10, v134
	v_lshl_add_u32 v44, v42, 3, v132
	v_pk_fma_f32 v[42:43], v[90:91], v[108:109], v[40:41] op_sel:[0,0,1] op_sel_hi:[1,1,0]
	v_pk_fma_f32 v[40:41], v[90:91], v[108:109], v[40:41] op_sel:[0,0,1] op_sel_hi:[1,0,0] neg_lo:[1,0,0] neg_hi:[1,0,0]
	s_nop 0
	v_mov_b32_e32 v43, v41
	v_pk_add_f32 v[40:41], v[106:107], v[42:43] neg_lo:[0,1] neg_hi:[0,1]
	s_nop 0
	v_pk_fma_f32 v[42:43], v[106:107], 2.0, v[40:41] op_sel_hi:[1,0,1] neg_lo:[0,0,1] neg_hi:[0,0,1]
	ds_write2_b64 v44, v[42:43], v[40:41] offset1:4
.LBB0_29:
	s_or_b64 exec, exec, s[0:1]
	v_add_u32_e32 v50, 0x400, v81
	s_waitcnt lgkmcnt(0)
	s_barrier
	ds_read2_b64 v[54:57], v50 offset0:48 offset1:136
	ds_read2_b64 v[40:43], v81 offset1:88
	v_add_u32_e32 v52, 0x800, v81
	ds_read2_b64 v[106:109], v52 offset0:96 offset1:184
	v_add_u32_e32 v51, 0x1000, v81
	s_waitcnt lgkmcnt(2)
	v_pk_mul_f32 v[2:3], v[2:3], v[54:55]
	ds_read2_b64 v[128:131], v51 offset0:16 offset1:104
	v_pk_fma_f32 v[90:91], v[126:127], v[54:55], v[2:3] op_sel:[0,0,1] op_sel_hi:[1,1,0]
	v_pk_fma_f32 v[2:3], v[126:127], v[54:55], v[2:3] op_sel:[0,0,1] op_sel_hi:[1,1,0] neg_lo:[0,0,1] neg_hi:[0,0,1]
	v_add_u32_e32 v49, 0x1400, v81
	v_mov_b32_e32 v91, v3
	v_pk_mul_f32 v[2:3], v[16:17], v[56:57]
	ds_read2_b64 v[132:135], v49 offset0:64 offset1:152
	ds_read_b64 v[58:59], v81 offset:7040
	v_pk_fma_f32 v[16:17], v[124:125], v[56:57], v[2:3] op_sel:[0,0,1] op_sel_hi:[1,1,0]
	v_pk_fma_f32 v[2:3], v[124:125], v[56:57], v[2:3] op_sel:[0,0,1] op_sel_hi:[1,1,0] neg_lo:[0,0,1] neg_hi:[0,0,1]
	v_mad_u64_u32 v[46:47], s[0:1], s6, v80, 0
	v_mov_b32_e32 v17, v3
	s_waitcnt lgkmcnt(3)
	v_pk_mul_f32 v[2:3], v[18:19], v[106:107]
	s_mov_b32 s12, 0xbf0a6770
	v_pk_fma_f32 v[18:19], v[122:123], v[106:107], v[2:3] op_sel:[0,0,1] op_sel_hi:[1,1,0]
	v_pk_fma_f32 v[2:3], v[122:123], v[106:107], v[2:3] op_sel:[0,0,1] op_sel_hi:[1,1,0] neg_lo:[0,0,1] neg_hi:[0,0,1]
	s_mov_b32 s0, 0x3f575c64
	v_mov_b32_e32 v19, v3
	v_pk_mul_f32 v[2:3], v[12:13], v[108:109]
	s_mov_b32 s26, 0xbf68dda4
	v_pk_fma_f32 v[12:13], v[120:121], v[108:109], v[2:3] op_sel:[0,0,1] op_sel_hi:[1,1,0]
	v_pk_fma_f32 v[2:3], v[120:121], v[108:109], v[2:3] op_sel:[0,0,1] op_sel_hi:[1,1,0] neg_lo:[0,0,1] neg_hi:[0,0,1]
	s_mov_b32 s6, 0x3ed4b147
	v_mov_b32_e32 v13, v3
	s_waitcnt lgkmcnt(2)
	v_pk_mul_f32 v[2:3], v[14:15], v[128:129]
	s_mov_b32 s10, 0xbf7d64f0
	v_pk_fma_f32 v[14:15], v[118:119], v[128:129], v[2:3] op_sel:[0,0,1] op_sel_hi:[1,1,0]
	v_pk_fma_f32 v[2:3], v[118:119], v[128:129], v[2:3] op_sel:[0,0,1] op_sel_hi:[1,1,0] neg_lo:[0,0,1] neg_hi:[0,0,1]
	v_mov_b32_e32 v44, s8
	v_mov_b32_e32 v15, v3
	v_pk_mul_f32 v[2:3], v[4:5], v[130:131]
	s_mov_b32 s8, 0xbe11bafb
	v_pk_fma_f32 v[4:5], v[116:117], v[130:131], v[2:3] op_sel:[0,0,1] op_sel_hi:[1,1,0]
	v_pk_fma_f32 v[2:3], v[116:117], v[130:131], v[2:3] op_sel:[0,0,1] op_sel_hi:[1,1,0] neg_lo:[0,0,1] neg_hi:[0,0,1]
	s_mov_b32 s16, 0xbf4178ce
	v_mov_b32_e32 v5, v3
	s_waitcnt lgkmcnt(1)
	v_pk_mul_f32 v[2:3], v[6:7], v[132:133]
	s_mov_b32 s14, 0xbf27a4f4
	v_pk_fma_f32 v[6:7], v[114:115], v[132:133], v[2:3] op_sel:[0,0,1] op_sel_hi:[1,1,0]
	v_pk_fma_f32 v[2:3], v[114:115], v[132:133], v[2:3] op_sel:[0,0,1] op_sel_hi:[1,1,0] neg_lo:[0,0,1] neg_hi:[0,0,1]
	s_mov_b32 s20, 0xbe903f40
	v_mov_b32_e32 v7, v3
	v_pk_mul_f32 v[2:3], v[8:9], v[134:135]
	s_mov_b32 s18, 0xbf75a155
	v_pk_fma_f32 v[8:9], v[112:113], v[134:135], v[2:3] op_sel:[0,0,1] op_sel_hi:[1,1,0]
	v_pk_fma_f32 v[2:3], v[112:113], v[134:135], v[2:3] op_sel:[0,0,1] op_sel_hi:[1,1,0] neg_lo:[0,0,1] neg_hi:[0,0,1]
	s_waitcnt lgkmcnt(0)
	v_mov_b32_e32 v9, v3
	v_pk_mul_f32 v[2:3], v[10:11], v[58:59]
	s_barrier
	v_pk_fma_f32 v[10:11], v[110:111], v[58:59], v[2:3] op_sel:[0,0,1] op_sel_hi:[1,1,0]
	v_pk_fma_f32 v[2:3], v[110:111], v[58:59], v[2:3] op_sel:[0,0,1] op_sel_hi:[1,1,0] neg_lo:[0,0,1] neg_hi:[0,0,1]
	v_pk_add_f32 v[58:59], v[90:91], v[8:9]
	v_mov_b32_e32 v11, v3
	v_pk_mul_f32 v[2:3], v[0:1], v[42:43] op_sel:[1,0]
	s_nop 0
	v_pk_fma_f32 v[54:55], v[0:1], v[42:43], v[2:3] op_sel:[0,0,1] op_sel_hi:[1,1,0]
	v_pk_fma_f32 v[0:1], v[0:1], v[42:43], v[2:3] op_sel:[0,0,1] op_sel_hi:[0,1,0] neg_lo:[0,0,1] neg_hi:[0,0,1]
	v_mov_b32_e32 v55, v1
	v_pk_add_f32 v[0:1], v[40:41], v[54:55]
	v_pk_add_f32 v[2:3], v[54:55], v[10:11]
	;; [unrolled: 1-line block ×3, first 2 shown]
	s_mov_b32 s30, 0x3e903f40
	v_pk_add_f32 v[0:1], v[0:1], v[16:17]
	s_mov_b32 s28, 0x3f7d64f0
	v_pk_add_f32 v[0:1], v[0:1], v[18:19]
	;; [unrolled: 2-line block ×4, first 2 shown]
	v_mov_b32_e32 v48, v47
	v_pk_add_f32 v[0:1], v[0:1], v[4:5]
	v_mov_b32_e32 v45, s9
	v_pk_add_f32 v[0:1], v[0:1], v[6:7]
	s_nop 0
	v_pk_add_f32 v[0:1], v[0:1], v[8:9]
	v_pk_add_f32 v[8:9], v[90:91], v[8:9] neg_lo:[0,1] neg_hi:[0,1]
	v_pk_add_f32 v[0:1], v[0:1], v[10:11]
	v_pk_add_f32 v[10:11], v[54:55], v[10:11] neg_lo:[0,1] neg_hi:[0,1]
	v_pk_mul_f32 v[90:91], v[8:9], s[26:27] op_sel_hi:[1,0]
	v_pk_mul_f32 v[42:43], v[10:11], s[12:13] op_sel_hi:[1,0]
	v_pk_fma_f32 v[106:107], v[58:59], s[6:7], v[90:91] op_sel:[0,0,1] op_sel_hi:[1,0,0]
	v_pk_fma_f32 v[54:55], v[2:3], s[0:1], v[42:43] op_sel:[0,0,1] op_sel_hi:[1,0,0]
	v_pk_fma_f32 v[42:43], v[2:3], s[0:1], v[42:43] op_sel:[0,0,1] op_sel_hi:[1,0,0] neg_lo:[0,0,1] neg_hi:[0,0,1]
	v_mov_b32_e32 v56, v54
	v_mov_b32_e32 v57, v43
	v_pk_fma_f32 v[90:91], v[58:59], s[6:7], v[90:91] op_sel:[0,0,1] op_sel_hi:[1,0,0] neg_lo:[0,0,1] neg_hi:[0,0,1]
	v_pk_add_f32 v[56:57], v[40:41], v[56:57]
	v_mov_b32_e32 v108, v106
	v_mov_b32_e32 v109, v91
	v_pk_add_f32 v[56:57], v[108:109], v[56:57]
	v_pk_add_f32 v[108:109], v[16:17], v[6:7]
	v_pk_add_f32 v[6:7], v[16:17], v[6:7] neg_lo:[0,1] neg_hi:[0,1]
	v_pk_mul_f32 v[122:123], v[8:9], s[16:17] op_sel_hi:[1,0]
	v_pk_mul_f32 v[16:17], v[6:7], s[10:11] op_sel_hi:[1,0]
	v_pk_fma_f32 v[124:125], v[58:59], s[14:15], v[122:123] op_sel:[0,0,1] op_sel_hi:[1,0,0]
	v_pk_fma_f32 v[110:111], v[108:109], s[8:9], v[16:17] op_sel:[0,0,1] op_sel_hi:[1,0,0]
	v_pk_fma_f32 v[16:17], v[108:109], s[8:9], v[16:17] op_sel:[0,0,1] op_sel_hi:[1,0,0] neg_lo:[0,0,1] neg_hi:[0,0,1]
	v_mov_b32_e32 v112, v110
	v_mov_b32_e32 v113, v17
	v_pk_add_f32 v[56:57], v[112:113], v[56:57]
	v_pk_add_f32 v[112:113], v[18:19], v[4:5]
	v_pk_add_f32 v[4:5], v[18:19], v[4:5] neg_lo:[0,1] neg_hi:[0,1]
	v_pk_fma_f32 v[122:123], v[58:59], s[14:15], v[122:123] op_sel:[0,0,1] op_sel_hi:[1,0,0] neg_lo:[0,0,1] neg_hi:[0,0,1]
	v_pk_mul_f32 v[18:19], v[4:5], s[16:17] op_sel_hi:[1,0]
	v_mov_b32_e32 v126, v124
	v_pk_fma_f32 v[114:115], v[112:113], s[14:15], v[18:19] op_sel:[0,0,1] op_sel_hi:[1,0,0]
	v_pk_fma_f32 v[18:19], v[112:113], s[14:15], v[18:19] op_sel:[0,0,1] op_sel_hi:[1,0,0] neg_lo:[0,0,1] neg_hi:[0,0,1]
	v_mov_b32_e32 v116, v114
	v_mov_b32_e32 v117, v19
	v_pk_add_f32 v[56:57], v[116:117], v[56:57]
	v_pk_add_f32 v[116:117], v[12:13], v[14:15]
	v_pk_add_f32 v[12:13], v[12:13], v[14:15] neg_lo:[0,1] neg_hi:[0,1]
	v_mov_b32_e32 v127, v123
	v_pk_mul_f32 v[14:15], v[12:13], s[20:21] op_sel_hi:[1,0]
	v_pk_mul_f32 v[144:145], v[8:9], s[30:31] op_sel_hi:[1,0]
	v_pk_fma_f32 v[118:119], v[116:117], s[18:19], v[14:15] op_sel:[0,0,1] op_sel_hi:[1,0,0]
	v_pk_fma_f32 v[14:15], v[116:117], s[18:19], v[14:15] op_sel:[0,0,1] op_sel_hi:[1,0,0] neg_lo:[0,0,1] neg_hi:[0,0,1]
	v_mov_b32_e32 v120, v118
	v_mov_b32_e32 v121, v15
	v_pk_add_f32 v[56:57], v[120:121], v[56:57]
	ds_write2_b64 v71, v[0:1], v[56:57] offset1:8
	v_pk_mul_f32 v[0:1], v[10:11], s[26:27] op_sel_hi:[1,0]
	v_pk_fma_f32 v[146:147], v[58:59], s[18:19], v[144:145] op_sel:[0,0,1] op_sel_hi:[1,0,0]
	v_pk_fma_f32 v[56:57], v[2:3], s[6:7], v[0:1] op_sel:[0,0,1] op_sel_hi:[1,0,0]
	v_pk_fma_f32 v[0:1], v[2:3], s[6:7], v[0:1] op_sel:[0,0,1] op_sel_hi:[1,0,0] neg_lo:[0,0,1] neg_hi:[0,0,1]
	v_mov_b32_e32 v120, v56
	v_mov_b32_e32 v121, v1
	v_pk_add_f32 v[120:121], v[40:41], v[120:121]
	v_pk_fma_f32 v[144:145], v[58:59], s[18:19], v[144:145] op_sel:[0,0,1] op_sel_hi:[1,0,0] neg_lo:[0,0,1] neg_hi:[0,0,1]
	v_pk_add_f32 v[120:121], v[126:127], v[120:121]
	v_pk_mul_f32 v[126:127], v[6:7], s[30:31] op_sel_hi:[1,0]
	v_mov_b32_e32 v148, v146
	v_pk_fma_f32 v[128:129], v[108:109], s[18:19], v[126:127] op_sel:[0,0,1] op_sel_hi:[1,0,0]
	v_pk_fma_f32 v[126:127], v[108:109], s[18:19], v[126:127] op_sel:[0,0,1] op_sel_hi:[1,0,0] neg_lo:[0,0,1] neg_hi:[0,0,1]
	v_mov_b32_e32 v130, v128
	v_mov_b32_e32 v131, v127
	v_pk_add_f32 v[120:121], v[130:131], v[120:121]
	v_pk_mul_f32 v[130:131], v[4:5], s[28:29] op_sel_hi:[1,0]
	v_mov_b32_e32 v149, v145
	v_pk_fma_f32 v[132:133], v[112:113], s[8:9], v[130:131] op_sel:[0,0,1] op_sel_hi:[1,0,0]
	v_pk_fma_f32 v[130:131], v[112:113], s[8:9], v[130:131] op_sel:[0,0,1] op_sel_hi:[1,0,0] neg_lo:[0,0,1] neg_hi:[0,0,1]
	v_mov_b32_e32 v134, v132
	v_mov_b32_e32 v135, v131
	v_pk_add_f32 v[120:121], v[134:135], v[120:121]
	v_pk_mul_f32 v[134:135], v[12:13], s[22:23] op_sel_hi:[1,0]
	v_pk_mul_f32 v[162:163], v[8:9], s[28:29] op_sel_hi:[1,0]
	v_pk_fma_f32 v[136:137], v[116:117], s[0:1], v[134:135] op_sel:[0,0,1] op_sel_hi:[1,0,0]
	v_pk_fma_f32 v[134:135], v[116:117], s[0:1], v[134:135] op_sel:[0,0,1] op_sel_hi:[1,0,0] neg_lo:[0,0,1] neg_hi:[0,0,1]
	v_mov_b32_e32 v138, v136
	v_mov_b32_e32 v139, v135
	v_pk_add_f32 v[120:121], v[138:139], v[120:121]
	v_pk_mul_f32 v[138:139], v[10:11], s[10:11] op_sel_hi:[1,0]
	v_pk_fma_f32 v[164:165], v[58:59], s[8:9], v[162:163] op_sel:[0,0,1] op_sel_hi:[1,0,0]
	v_pk_fma_f32 v[140:141], v[2:3], s[8:9], v[138:139] op_sel:[0,0,1] op_sel_hi:[1,0,0]
	v_pk_fma_f32 v[138:139], v[2:3], s[8:9], v[138:139] op_sel:[0,0,1] op_sel_hi:[1,0,0] neg_lo:[0,0,1] neg_hi:[0,0,1]
	v_mov_b32_e32 v142, v140
	v_mov_b32_e32 v143, v139
	v_pk_add_f32 v[142:143], v[40:41], v[142:143]
	v_pk_fma_f32 v[162:163], v[58:59], s[8:9], v[162:163] op_sel:[0,0,1] op_sel_hi:[1,0,0] neg_lo:[0,0,1] neg_hi:[0,0,1]
	v_pk_add_f32 v[142:143], v[148:149], v[142:143]
	v_pk_mul_f32 v[148:149], v[6:7], s[24:25] op_sel_hi:[1,0]
	v_mov_b32_e32 v166, v164
	v_pk_fma_f32 v[150:151], v[108:109], s[6:7], v[148:149] op_sel:[0,0,1] op_sel_hi:[1,0,0]
	v_pk_fma_f32 v[148:149], v[108:109], s[6:7], v[148:149] op_sel:[0,0,1] op_sel_hi:[1,0,0] neg_lo:[0,0,1] neg_hi:[0,0,1]
	v_mov_b32_e32 v152, v150
	v_mov_b32_e32 v153, v149
	v_pk_add_f32 v[142:143], v[152:153], v[142:143]
	v_pk_mul_f32 v[152:153], v[4:5], s[12:13] op_sel_hi:[1,0]
	v_mov_b32_e32 v167, v163
	v_pk_fma_f32 v[154:155], v[112:113], s[0:1], v[152:153] op_sel:[0,0,1] op_sel_hi:[1,0,0]
	v_pk_fma_f32 v[152:153], v[112:113], s[0:1], v[152:153] op_sel:[0,0,1] op_sel_hi:[1,0,0] neg_lo:[0,0,1] neg_hi:[0,0,1]
	v_mov_b32_e32 v156, v154
	v_mov_b32_e32 v157, v153
	v_pk_add_f32 v[142:143], v[156:157], v[142:143]
	v_pk_mul_f32 v[156:157], v[12:13], s[16:17] op_sel_hi:[1,0]
	v_pk_mul_f32 v[8:9], v[8:9], s[22:23] op_sel_hi:[1,0]
	v_pk_fma_f32 v[158:159], v[116:117], s[14:15], v[156:157] op_sel:[0,0,1] op_sel_hi:[1,0,0]
	v_pk_fma_f32 v[156:157], v[116:117], s[14:15], v[156:157] op_sel:[0,0,1] op_sel_hi:[1,0,0] neg_lo:[0,0,1] neg_hi:[0,0,1]
	v_mov_b32_e32 v160, v158
	v_mov_b32_e32 v161, v157
	v_pk_add_f32 v[142:143], v[160:161], v[142:143]
	ds_write2_b64 v71, v[120:121], v[142:143] offset0:16 offset1:24
	v_pk_mul_f32 v[120:121], v[10:11], s[16:17] op_sel_hi:[1,0]
	v_pk_mul_f32 v[10:11], v[10:11], s[20:21] op_sel_hi:[1,0]
	v_pk_fma_f32 v[142:143], v[2:3], s[14:15], v[120:121] op_sel:[0,0,1] op_sel_hi:[1,0,0]
	v_pk_fma_f32 v[120:121], v[2:3], s[14:15], v[120:121] op_sel:[0,0,1] op_sel_hi:[1,0,0] neg_lo:[0,0,1] neg_hi:[0,0,1]
	v_mov_b32_e32 v160, v142
	v_mov_b32_e32 v161, v121
	v_pk_add_f32 v[160:161], v[40:41], v[160:161]
	v_pk_fma_f32 v[180:181], v[58:59], s[0:1], v[8:9] op_sel:[0,0,1] op_sel_hi:[1,0,0]
	v_pk_add_f32 v[160:161], v[166:167], v[160:161]
	v_pk_mul_f32 v[166:167], v[6:7], s[12:13] op_sel_hi:[1,0]
	v_pk_fma_f32 v[8:9], v[58:59], s[0:1], v[8:9] op_sel:[0,0,1] op_sel_hi:[1,0,0] neg_lo:[0,0,1] neg_hi:[0,0,1]
	v_pk_fma_f32 v[168:169], v[108:109], s[0:1], v[166:167] op_sel:[0,0,1] op_sel_hi:[1,0,0]
	v_pk_fma_f32 v[166:167], v[108:109], s[0:1], v[166:167] op_sel:[0,0,1] op_sel_hi:[1,0,0] neg_lo:[0,0,1] neg_hi:[0,0,1]
	v_mov_b32_e32 v170, v168
	v_mov_b32_e32 v171, v167
	v_pk_add_f32 v[160:161], v[170:171], v[160:161]
	v_pk_mul_f32 v[170:171], v[4:5], s[20:21] op_sel_hi:[1,0]
	v_mov_b32_e32 v58, v180
	v_pk_fma_f32 v[172:173], v[112:113], s[18:19], v[170:171] op_sel:[0,0,1] op_sel_hi:[1,0,0]
	v_pk_fma_f32 v[170:171], v[112:113], s[18:19], v[170:171] op_sel:[0,0,1] op_sel_hi:[1,0,0] neg_lo:[0,0,1] neg_hi:[0,0,1]
	v_mov_b32_e32 v174, v172
	v_mov_b32_e32 v175, v171
	v_pk_add_f32 v[160:161], v[174:175], v[160:161]
	v_pk_mul_f32 v[174:175], v[12:13], s[24:25] op_sel_hi:[1,0]
	v_mov_b32_e32 v59, v9
	v_pk_fma_f32 v[176:177], v[116:117], s[6:7], v[174:175] op_sel:[0,0,1] op_sel_hi:[1,0,0]
	v_pk_fma_f32 v[174:175], v[116:117], s[6:7], v[174:175] op_sel:[0,0,1] op_sel_hi:[1,0,0] neg_lo:[0,0,1] neg_hi:[0,0,1]
	v_mov_b32_e32 v178, v176
	v_mov_b32_e32 v179, v175
	v_pk_add_f32 v[160:161], v[178:179], v[160:161]
	v_pk_fma_f32 v[178:179], v[2:3], s[18:19], v[10:11] op_sel:[0,0,1] op_sel_hi:[1,0,0]
	v_pk_fma_f32 v[2:3], v[2:3], s[18:19], v[10:11] op_sel:[0,0,1] op_sel_hi:[1,0,0] neg_lo:[0,0,1] neg_hi:[0,0,1]
	v_mov_b32_e32 v10, v178
	v_mov_b32_e32 v11, v3
	v_pk_add_f32 v[10:11], v[40:41], v[10:11]
	v_pk_mul_f32 v[6:7], v[6:7], s[16:17] op_sel_hi:[1,0]
	v_pk_add_f32 v[10:11], v[58:59], v[10:11]
	v_pk_fma_f32 v[58:59], v[108:109], s[14:15], v[6:7] op_sel:[0,0,1] op_sel_hi:[1,0,0]
	v_pk_fma_f32 v[6:7], v[108:109], s[14:15], v[6:7] op_sel:[0,0,1] op_sel_hi:[1,0,0] neg_lo:[0,0,1] neg_hi:[0,0,1]
	v_mov_b32_e32 v3, v179
	v_mov_b32_e32 v108, v58
	;; [unrolled: 1-line block ×3, first 2 shown]
	v_pk_mul_f32 v[4:5], v[4:5], s[24:25] op_sel_hi:[1,0]
	v_pk_add_f32 v[2:3], v[40:41], v[2:3]
	v_mov_b32_e32 v9, v181
	v_pk_add_f32 v[10:11], v[108:109], v[10:11]
	v_pk_fma_f32 v[108:109], v[112:113], s[6:7], v[4:5] op_sel:[0,0,1] op_sel_hi:[1,0,0]
	v_pk_fma_f32 v[4:5], v[112:113], s[6:7], v[4:5] op_sel:[0,0,1] op_sel_hi:[1,0,0] neg_lo:[0,0,1] neg_hi:[0,0,1]
	v_pk_add_f32 v[2:3], v[8:9], v[2:3]
	v_mov_b32_e32 v7, v59
	v_mov_b32_e32 v113, v5
	v_pk_add_f32 v[2:3], v[6:7], v[2:3]
	v_mov_b32_e32 v5, v109
	v_mov_b32_e32 v121, v143
	v_pk_add_f32 v[2:3], v[4:5], v[2:3]
	v_pk_add_f32 v[4:5], v[40:41], v[120:121]
	v_mov_b32_e32 v163, v165
	v_mov_b32_e32 v112, v108
	v_pk_mul_f32 v[12:13], v[12:13], s[10:11] op_sel_hi:[1,0]
	v_pk_add_f32 v[4:5], v[162:163], v[4:5]
	v_mov_b32_e32 v167, v169
	v_pk_add_f32 v[10:11], v[112:113], v[10:11]
	v_pk_fma_f32 v[112:113], v[116:117], s[8:9], v[12:13] op_sel:[0,0,1] op_sel_hi:[1,0,0]
	v_pk_fma_f32 v[12:13], v[116:117], s[8:9], v[12:13] op_sel:[0,0,1] op_sel_hi:[1,0,0] neg_lo:[0,0,1] neg_hi:[0,0,1]
	v_pk_add_f32 v[4:5], v[166:167], v[4:5]
	v_mov_b32_e32 v171, v173
	v_mov_b32_e32 v117, v13
	;; [unrolled: 1-line block ×3, first 2 shown]
	v_pk_add_f32 v[4:5], v[170:171], v[4:5]
	v_mov_b32_e32 v175, v177
	v_pk_add_f32 v[2:3], v[12:13], v[2:3]
	v_pk_add_f32 v[4:5], v[174:175], v[4:5]
	v_mov_b32_e32 v139, v141
	v_mov_b32_e32 v1, v57
	ds_write2_b64 v71, v[2:3], v[4:5] offset0:48 offset1:56
	v_pk_add_f32 v[2:3], v[40:41], v[138:139]
	v_mov_b32_e32 v145, v147
	v_pk_add_f32 v[0:1], v[40:41], v[0:1]
	v_mov_b32_e32 v123, v125
	;; [unrolled: 2-line block ×8, first 2 shown]
	v_pk_add_f32 v[2:3], v[156:157], v[2:3]
	v_pk_add_f32 v[0:1], v[134:135], v[0:1]
	v_mov_b32_e32 v43, v55
	ds_write2_b64 v71, v[2:3], v[0:1] offset0:64 offset1:72
	v_pk_add_f32 v[0:1], v[40:41], v[42:43]
	v_mov_b32_e32 v91, v107
	v_pk_add_f32 v[0:1], v[90:91], v[0:1]
	v_mov_b32_e32 v17, v111
	;; [unrolled: 2-line block ×3, first 2 shown]
	v_mov_b32_e32 v116, v112
	v_pk_add_f32 v[0:1], v[18:19], v[0:1]
	v_mov_b32_e32 v15, v119
	v_pk_add_f32 v[10:11], v[116:117], v[10:11]
	v_pk_add_f32 v[0:1], v[14:15], v[0:1]
	ds_write2_b64 v71, v[160:161], v[10:11] offset0:32 offset1:40
	ds_write_b64 v71, v[0:1] offset:640
	s_waitcnt lgkmcnt(0)
	s_barrier
	ds_read2_b64 v[4:7], v50 offset0:48 offset1:136
	ds_read2_b64 v[0:3], v81 offset1:88
	ds_read2_b64 v[8:11], v52 offset0:96 offset1:184
	ds_read2_b64 v[12:15], v51 offset0:16 offset1:104
	;; [unrolled: 1-line block ×3, first 2 shown]
	ds_read_b64 v[40:41], v81 offset:7040
	s_waitcnt lgkmcnt(5)
	v_pk_mul_f32 v[22:23], v[22:23], v[4:5]
	s_nop 0
	v_pk_fma_f32 v[42:43], v[104:105], v[4:5], v[22:23] op_sel:[0,0,1] op_sel_hi:[1,1,0]
	v_pk_fma_f32 v[4:5], v[104:105], v[4:5], v[22:23] op_sel:[0,0,1] op_sel_hi:[1,1,0] neg_lo:[0,0,1] neg_hi:[0,0,1]
	s_nop 0
	v_mov_b32_e32 v43, v5
	v_pk_mul_f32 v[4:5], v[36:37], v[6:7]
	s_nop 0
	v_pk_fma_f32 v[22:23], v[102:103], v[6:7], v[4:5] op_sel:[0,0,1] op_sel_hi:[1,1,0]
	v_pk_fma_f32 v[4:5], v[102:103], v[6:7], v[4:5] op_sel:[0,0,1] op_sel_hi:[1,1,0] neg_lo:[0,0,1] neg_hi:[0,0,1]
	s_nop 0
	v_mov_b32_e32 v23, v5
	s_waitcnt lgkmcnt(3)
	v_pk_mul_f32 v[4:5], v[38:39], v[8:9]
	s_nop 0
	v_pk_fma_f32 v[6:7], v[100:101], v[8:9], v[4:5] op_sel:[0,0,1] op_sel_hi:[1,1,0]
	v_pk_fma_f32 v[4:5], v[100:101], v[8:9], v[4:5] op_sel:[0,0,1] op_sel_hi:[1,1,0] neg_lo:[0,0,1] neg_hi:[0,0,1]
	s_nop 0
	v_mov_b32_e32 v7, v5
	v_pk_mul_f32 v[4:5], v[32:33], v[10:11]
	s_nop 0
	v_pk_fma_f32 v[8:9], v[98:99], v[10:11], v[4:5] op_sel:[0,0,1] op_sel_hi:[1,1,0]
	v_pk_fma_f32 v[4:5], v[98:99], v[10:11], v[4:5] op_sel:[0,0,1] op_sel_hi:[1,1,0] neg_lo:[0,0,1] neg_hi:[0,0,1]
	s_nop 0
	v_mov_b32_e32 v9, v5
	;; [unrolled: 13-line block ×4, first 2 shown]
	s_waitcnt lgkmcnt(0)
	v_pk_mul_f32 v[4:5], v[30:31], v[40:41]
	v_pk_add_f32 v[28:29], v[42:43], v[16:17]
	v_pk_fma_f32 v[18:19], v[60:61], v[40:41], v[4:5] op_sel:[0,0,1] op_sel_hi:[1,1,0]
	v_pk_fma_f32 v[4:5], v[60:61], v[40:41], v[4:5] op_sel:[0,0,1] op_sel_hi:[1,1,0] neg_lo:[0,0,1] neg_hi:[0,0,1]
	s_nop 0
	v_mov_b32_e32 v19, v5
	v_pk_mul_f32 v[4:5], v[20:21], v[2:3] op_sel:[1,0]
	s_nop 0
	v_pk_fma_f32 v[24:25], v[20:21], v[2:3], v[4:5] op_sel:[0,0,1] op_sel_hi:[1,1,0]
	v_pk_fma_f32 v[2:3], v[20:21], v[2:3], v[4:5] op_sel:[0,0,1] op_sel_hi:[0,1,0] neg_lo:[0,0,1] neg_hi:[0,0,1]
	v_mov_b32_e32 v25, v3
	v_pk_add_f32 v[2:3], v[0:1], v[24:25]
	v_pk_add_f32 v[4:5], v[24:25], v[18:19]
	;; [unrolled: 1-line block ×3, first 2 shown]
	s_nop 0
	v_pk_add_f32 v[2:3], v[2:3], v[22:23]
	s_nop 0
	v_pk_add_f32 v[2:3], v[2:3], v[6:7]
	;; [unrolled: 2-line block ×7, first 2 shown]
	v_pk_add_f32 v[16:17], v[42:43], v[16:17] neg_lo:[0,1] neg_hi:[0,1]
	v_pk_add_f32 v[2:3], v[2:3], v[18:19]
	v_pk_add_f32 v[18:19], v[24:25], v[18:19] neg_lo:[0,1] neg_hi:[0,1]
	v_pk_mul_f32 v[30:31], v[16:17], s[26:27] op_sel_hi:[1,0]
	v_pk_mul_f32 v[20:21], v[18:19], s[12:13] op_sel_hi:[1,0]
	v_pk_fma_f32 v[32:33], v[28:29], s[6:7], v[30:31] op_sel:[0,0,1] op_sel_hi:[1,0,0]
	v_pk_fma_f32 v[24:25], v[4:5], s[0:1], v[20:21] op_sel:[0,0,1] op_sel_hi:[1,0,0]
	v_pk_fma_f32 v[20:21], v[4:5], s[0:1], v[20:21] op_sel:[0,0,1] op_sel_hi:[1,0,0] neg_lo:[0,0,1] neg_hi:[0,0,1]
	v_mov_b32_e32 v26, v24
	v_mov_b32_e32 v27, v21
	v_pk_fma_f32 v[30:31], v[28:29], s[6:7], v[30:31] op_sel:[0,0,1] op_sel_hi:[1,0,0] neg_lo:[0,0,1] neg_hi:[0,0,1]
	v_pk_add_f32 v[26:27], v[0:1], v[26:27]
	v_mov_b32_e32 v34, v32
	v_mov_b32_e32 v35, v31
	v_pk_add_f32 v[26:27], v[34:35], v[26:27]
	v_pk_add_f32 v[34:35], v[22:23], v[14:15]
	v_pk_add_f32 v[14:15], v[22:23], v[14:15] neg_lo:[0,1] neg_hi:[0,1]
	v_pk_mul_f32 v[58:59], v[16:17], s[16:17] op_sel_hi:[1,0]
	v_pk_mul_f32 v[22:23], v[14:15], s[10:11] op_sel_hi:[1,0]
	v_pk_fma_f32 v[60:61], v[28:29], s[14:15], v[58:59] op_sel:[0,0,1] op_sel_hi:[1,0,0]
	v_pk_fma_f32 v[36:37], v[34:35], s[8:9], v[22:23] op_sel:[0,0,1] op_sel_hi:[1,0,0]
	v_pk_fma_f32 v[22:23], v[34:35], s[8:9], v[22:23] op_sel:[0,0,1] op_sel_hi:[1,0,0] neg_lo:[0,0,1] neg_hi:[0,0,1]
	v_mov_b32_e32 v38, v36
	v_mov_b32_e32 v39, v23
	v_pk_add_f32 v[26:27], v[38:39], v[26:27]
	v_pk_add_f32 v[38:39], v[6:7], v[12:13]
	v_pk_add_f32 v[6:7], v[6:7], v[12:13] neg_lo:[0,1] neg_hi:[0,1]
	v_pk_fma_f32 v[58:59], v[28:29], s[14:15], v[58:59] op_sel:[0,0,1] op_sel_hi:[1,0,0] neg_lo:[0,0,1] neg_hi:[0,0,1]
	v_pk_mul_f32 v[12:13], v[6:7], s[16:17] op_sel_hi:[1,0]
	v_mov_b32_e32 v62, v60
	v_pk_fma_f32 v[40:41], v[38:39], s[14:15], v[12:13] op_sel:[0,0,1] op_sel_hi:[1,0,0]
	v_pk_fma_f32 v[12:13], v[38:39], s[14:15], v[12:13] op_sel:[0,0,1] op_sel_hi:[1,0,0] neg_lo:[0,0,1] neg_hi:[0,0,1]
	v_mov_b32_e32 v42, v40
	v_mov_b32_e32 v43, v13
	v_pk_add_f32 v[26:27], v[42:43], v[26:27]
	v_pk_add_f32 v[42:43], v[8:9], v[10:11]
	v_pk_add_f32 v[8:9], v[8:9], v[10:11] neg_lo:[0,1] neg_hi:[0,1]
	v_mov_b32_e32 v63, v59
	v_pk_mul_f32 v[10:11], v[8:9], s[20:21] op_sel_hi:[1,0]
	v_pk_mul_f32 v[106:107], v[16:17], s[30:31] op_sel_hi:[1,0]
	v_pk_fma_f32 v[54:55], v[42:43], s[18:19], v[10:11] op_sel:[0,0,1] op_sel_hi:[1,0,0]
	v_pk_fma_f32 v[10:11], v[42:43], s[18:19], v[10:11] op_sel:[0,0,1] op_sel_hi:[1,0,0] neg_lo:[0,0,1] neg_hi:[0,0,1]
	v_mov_b32_e32 v56, v54
	v_mov_b32_e32 v57, v11
	v_pk_add_f32 v[26:27], v[56:57], v[26:27]
	ds_write2_b64 v81, v[2:3], v[26:27] offset1:88
	v_pk_mul_f32 v[2:3], v[18:19], s[26:27] op_sel_hi:[1,0]
	v_pk_fma_f32 v[108:109], v[28:29], s[18:19], v[106:107] op_sel:[0,0,1] op_sel_hi:[1,0,0]
	v_pk_fma_f32 v[26:27], v[4:5], s[6:7], v[2:3] op_sel:[0,0,1] op_sel_hi:[1,0,0]
	v_pk_fma_f32 v[2:3], v[4:5], s[6:7], v[2:3] op_sel:[0,0,1] op_sel_hi:[1,0,0] neg_lo:[0,0,1] neg_hi:[0,0,1]
	v_mov_b32_e32 v56, v26
	v_mov_b32_e32 v57, v3
	v_pk_add_f32 v[56:57], v[0:1], v[56:57]
	v_pk_fma_f32 v[106:107], v[28:29], s[18:19], v[106:107] op_sel:[0,0,1] op_sel_hi:[1,0,0] neg_lo:[0,0,1] neg_hi:[0,0,1]
	v_pk_add_f32 v[56:57], v[62:63], v[56:57]
	v_pk_mul_f32 v[62:63], v[14:15], s[30:31] op_sel_hi:[1,0]
	v_mov_b32_e32 v110, v108
	v_pk_fma_f32 v[90:91], v[34:35], s[18:19], v[62:63] op_sel:[0,0,1] op_sel_hi:[1,0,0]
	v_pk_fma_f32 v[62:63], v[34:35], s[18:19], v[62:63] op_sel:[0,0,1] op_sel_hi:[1,0,0] neg_lo:[0,0,1] neg_hi:[0,0,1]
	v_mov_b32_e32 v92, v90
	v_mov_b32_e32 v93, v63
	v_pk_add_f32 v[56:57], v[92:93], v[56:57]
	v_pk_mul_f32 v[92:93], v[6:7], s[28:29] op_sel_hi:[1,0]
	v_mov_b32_e32 v111, v107
	v_pk_fma_f32 v[94:95], v[38:39], s[8:9], v[92:93] op_sel:[0,0,1] op_sel_hi:[1,0,0]
	v_pk_fma_f32 v[92:93], v[38:39], s[8:9], v[92:93] op_sel:[0,0,1] op_sel_hi:[1,0,0] neg_lo:[0,0,1] neg_hi:[0,0,1]
	v_mov_b32_e32 v96, v94
	v_mov_b32_e32 v97, v93
	v_pk_add_f32 v[56:57], v[96:97], v[56:57]
	v_pk_mul_f32 v[96:97], v[8:9], s[22:23] op_sel_hi:[1,0]
	v_pk_mul_f32 v[124:125], v[16:17], s[28:29] op_sel_hi:[1,0]
	v_pk_fma_f32 v[98:99], v[42:43], s[0:1], v[96:97] op_sel:[0,0,1] op_sel_hi:[1,0,0]
	v_pk_fma_f32 v[96:97], v[42:43], s[0:1], v[96:97] op_sel:[0,0,1] op_sel_hi:[1,0,0] neg_lo:[0,0,1] neg_hi:[0,0,1]
	v_mov_b32_e32 v100, v98
	v_mov_b32_e32 v101, v97
	v_pk_add_f32 v[56:57], v[100:101], v[56:57]
	v_pk_mul_f32 v[100:101], v[18:19], s[10:11] op_sel_hi:[1,0]
	v_pk_fma_f32 v[126:127], v[28:29], s[8:9], v[124:125] op_sel:[0,0,1] op_sel_hi:[1,0,0]
	v_pk_fma_f32 v[102:103], v[4:5], s[8:9], v[100:101] op_sel:[0,0,1] op_sel_hi:[1,0,0]
	v_pk_fma_f32 v[100:101], v[4:5], s[8:9], v[100:101] op_sel:[0,0,1] op_sel_hi:[1,0,0] neg_lo:[0,0,1] neg_hi:[0,0,1]
	v_mov_b32_e32 v104, v102
	v_mov_b32_e32 v105, v101
	v_pk_add_f32 v[104:105], v[0:1], v[104:105]
	v_pk_fma_f32 v[124:125], v[28:29], s[8:9], v[124:125] op_sel:[0,0,1] op_sel_hi:[1,0,0] neg_lo:[0,0,1] neg_hi:[0,0,1]
	v_pk_add_f32 v[104:105], v[110:111], v[104:105]
	v_pk_mul_f32 v[110:111], v[14:15], s[24:25] op_sel_hi:[1,0]
	v_mov_b32_e32 v128, v126
	v_pk_fma_f32 v[112:113], v[34:35], s[6:7], v[110:111] op_sel:[0,0,1] op_sel_hi:[1,0,0]
	v_pk_fma_f32 v[110:111], v[34:35], s[6:7], v[110:111] op_sel:[0,0,1] op_sel_hi:[1,0,0] neg_lo:[0,0,1] neg_hi:[0,0,1]
	v_mov_b32_e32 v114, v112
	v_mov_b32_e32 v115, v111
	v_pk_add_f32 v[104:105], v[114:115], v[104:105]
	v_pk_mul_f32 v[114:115], v[6:7], s[12:13] op_sel_hi:[1,0]
	v_mov_b32_e32 v129, v125
	v_pk_fma_f32 v[116:117], v[38:39], s[0:1], v[114:115] op_sel:[0,0,1] op_sel_hi:[1,0,0]
	v_pk_fma_f32 v[114:115], v[38:39], s[0:1], v[114:115] op_sel:[0,0,1] op_sel_hi:[1,0,0] neg_lo:[0,0,1] neg_hi:[0,0,1]
	v_mov_b32_e32 v118, v116
	v_mov_b32_e32 v119, v115
	v_pk_add_f32 v[104:105], v[118:119], v[104:105]
	v_pk_mul_f32 v[118:119], v[8:9], s[16:17] op_sel_hi:[1,0]
	v_pk_mul_f32 v[16:17], v[16:17], s[22:23] op_sel_hi:[1,0]
	v_pk_fma_f32 v[120:121], v[42:43], s[14:15], v[118:119] op_sel:[0,0,1] op_sel_hi:[1,0,0]
	v_pk_fma_f32 v[118:119], v[42:43], s[14:15], v[118:119] op_sel:[0,0,1] op_sel_hi:[1,0,0] neg_lo:[0,0,1] neg_hi:[0,0,1]
	v_mov_b32_e32 v122, v120
	v_mov_b32_e32 v123, v119
	v_pk_add_f32 v[104:105], v[122:123], v[104:105]
	ds_write2_b64 v50, v[56:57], v[104:105] offset0:48 offset1:136
	v_pk_mul_f32 v[56:57], v[18:19], s[16:17] op_sel_hi:[1,0]
	v_pk_mul_f32 v[18:19], v[18:19], s[20:21] op_sel_hi:[1,0]
	v_pk_fma_f32 v[104:105], v[4:5], s[14:15], v[56:57] op_sel:[0,0,1] op_sel_hi:[1,0,0]
	v_pk_fma_f32 v[56:57], v[4:5], s[14:15], v[56:57] op_sel:[0,0,1] op_sel_hi:[1,0,0] neg_lo:[0,0,1] neg_hi:[0,0,1]
	v_mov_b32_e32 v122, v104
	v_mov_b32_e32 v123, v57
	v_pk_add_f32 v[122:123], v[0:1], v[122:123]
	v_pk_fma_f32 v[142:143], v[28:29], s[0:1], v[16:17] op_sel:[0,0,1] op_sel_hi:[1,0,0]
	v_pk_add_f32 v[122:123], v[128:129], v[122:123]
	v_pk_mul_f32 v[128:129], v[14:15], s[12:13] op_sel_hi:[1,0]
	v_pk_fma_f32 v[16:17], v[28:29], s[0:1], v[16:17] op_sel:[0,0,1] op_sel_hi:[1,0,0] neg_lo:[0,0,1] neg_hi:[0,0,1]
	v_pk_fma_f32 v[130:131], v[34:35], s[0:1], v[128:129] op_sel:[0,0,1] op_sel_hi:[1,0,0]
	v_pk_fma_f32 v[128:129], v[34:35], s[0:1], v[128:129] op_sel:[0,0,1] op_sel_hi:[1,0,0] neg_lo:[0,0,1] neg_hi:[0,0,1]
	v_mov_b32_e32 v132, v130
	v_mov_b32_e32 v133, v129
	v_pk_add_f32 v[122:123], v[132:133], v[122:123]
	v_pk_mul_f32 v[132:133], v[6:7], s[20:21] op_sel_hi:[1,0]
	v_mov_b32_e32 v28, v142
	v_pk_fma_f32 v[134:135], v[38:39], s[18:19], v[132:133] op_sel:[0,0,1] op_sel_hi:[1,0,0]
	v_pk_fma_f32 v[132:133], v[38:39], s[18:19], v[132:133] op_sel:[0,0,1] op_sel_hi:[1,0,0] neg_lo:[0,0,1] neg_hi:[0,0,1]
	v_mov_b32_e32 v136, v134
	v_mov_b32_e32 v137, v133
	v_pk_add_f32 v[122:123], v[136:137], v[122:123]
	v_pk_mul_f32 v[136:137], v[8:9], s[24:25] op_sel_hi:[1,0]
	v_mov_b32_e32 v29, v17
	v_pk_fma_f32 v[138:139], v[42:43], s[6:7], v[136:137] op_sel:[0,0,1] op_sel_hi:[1,0,0]
	v_pk_fma_f32 v[136:137], v[42:43], s[6:7], v[136:137] op_sel:[0,0,1] op_sel_hi:[1,0,0] neg_lo:[0,0,1] neg_hi:[0,0,1]
	v_mov_b32_e32 v140, v138
	v_mov_b32_e32 v141, v137
	v_pk_add_f32 v[122:123], v[140:141], v[122:123]
	v_pk_fma_f32 v[140:141], v[4:5], s[18:19], v[18:19] op_sel:[0,0,1] op_sel_hi:[1,0,0]
	v_pk_fma_f32 v[4:5], v[4:5], s[18:19], v[18:19] op_sel:[0,0,1] op_sel_hi:[1,0,0] neg_lo:[0,0,1] neg_hi:[0,0,1]
	v_mov_b32_e32 v18, v140
	v_mov_b32_e32 v19, v5
	v_pk_add_f32 v[18:19], v[0:1], v[18:19]
	v_pk_mul_f32 v[14:15], v[14:15], s[16:17] op_sel_hi:[1,0]
	v_pk_add_f32 v[18:19], v[28:29], v[18:19]
	v_pk_fma_f32 v[28:29], v[34:35], s[14:15], v[14:15] op_sel:[0,0,1] op_sel_hi:[1,0,0]
	v_pk_fma_f32 v[14:15], v[34:35], s[14:15], v[14:15] op_sel:[0,0,1] op_sel_hi:[1,0,0] neg_lo:[0,0,1] neg_hi:[0,0,1]
	v_mov_b32_e32 v5, v141
	v_mov_b32_e32 v34, v28
	;; [unrolled: 1-line block ×3, first 2 shown]
	v_pk_mul_f32 v[6:7], v[6:7], s[24:25] op_sel_hi:[1,0]
	v_pk_add_f32 v[4:5], v[0:1], v[4:5]
	v_mov_b32_e32 v17, v143
	v_pk_add_f32 v[18:19], v[34:35], v[18:19]
	v_pk_fma_f32 v[34:35], v[38:39], s[6:7], v[6:7] op_sel:[0,0,1] op_sel_hi:[1,0,0]
	v_pk_fma_f32 v[6:7], v[38:39], s[6:7], v[6:7] op_sel:[0,0,1] op_sel_hi:[1,0,0] neg_lo:[0,0,1] neg_hi:[0,0,1]
	v_pk_add_f32 v[4:5], v[16:17], v[4:5]
	v_mov_b32_e32 v15, v29
	v_mov_b32_e32 v39, v7
	v_pk_add_f32 v[4:5], v[14:15], v[4:5]
	v_mov_b32_e32 v7, v35
	v_mov_b32_e32 v57, v105
	v_pk_add_f32 v[4:5], v[6:7], v[4:5]
	v_pk_add_f32 v[6:7], v[0:1], v[56:57]
	v_mov_b32_e32 v125, v127
	v_mov_b32_e32 v38, v34
	v_pk_mul_f32 v[8:9], v[8:9], s[10:11] op_sel_hi:[1,0]
	v_pk_add_f32 v[6:7], v[124:125], v[6:7]
	v_mov_b32_e32 v129, v131
	v_pk_add_f32 v[18:19], v[38:39], v[18:19]
	v_pk_fma_f32 v[38:39], v[42:43], s[8:9], v[8:9] op_sel:[0,0,1] op_sel_hi:[1,0,0]
	v_pk_fma_f32 v[8:9], v[42:43], s[8:9], v[8:9] op_sel:[0,0,1] op_sel_hi:[1,0,0] neg_lo:[0,0,1] neg_hi:[0,0,1]
	v_pk_add_f32 v[6:7], v[128:129], v[6:7]
	v_mov_b32_e32 v133, v135
	v_mov_b32_e32 v43, v9
	;; [unrolled: 1-line block ×3, first 2 shown]
	v_pk_add_f32 v[6:7], v[132:133], v[6:7]
	v_mov_b32_e32 v137, v139
	v_pk_add_f32 v[4:5], v[8:9], v[4:5]
	v_pk_add_f32 v[6:7], v[136:137], v[6:7]
	v_mov_b32_e32 v101, v103
	v_mov_b32_e32 v3, v27
	;; [unrolled: 1-line block ×3, first 2 shown]
	ds_write2_b64 v51, v[4:5], v[6:7] offset0:16 offset1:104
	v_pk_add_f32 v[4:5], v[0:1], v[100:101]
	v_mov_b32_e32 v107, v109
	v_pk_add_f32 v[2:3], v[0:1], v[2:3]
	v_mov_b32_e32 v59, v61
	;; [unrolled: 2-line block ×9, first 2 shown]
	v_mov_b32_e32 v42, v38
	v_pk_add_f32 v[4:5], v[114:115], v[4:5]
	v_mov_b32_e32 v119, v121
	v_pk_add_f32 v[2:3], v[92:93], v[2:3]
	;; [unrolled: 2-line block ×4, first 2 shown]
	v_pk_add_f32 v[4:5], v[118:119], v[4:5]
	v_pk_add_f32 v[2:3], v[96:97], v[2:3]
	v_pk_add_f32 v[0:1], v[10:11], v[0:1]
	ds_write2_b64 v52, v[122:123], v[18:19] offset0:96 offset1:184
	ds_write2_b64 v49, v[4:5], v[2:3] offset0:64 offset1:152
	ds_write_b64 v81, v[0:1] offset:7040
	s_waitcnt lgkmcnt(0)
	s_barrier
	ds_read2_b64 v[0:3], v81 offset1:88
	v_mad_u64_u32 v[4:5], s[0:1], s7, v80, v[48:49]
	v_mov_b32_e32 v47, v4
	s_mov_b32 s0, 0x6be69c90
	s_waitcnt lgkmcnt(0)
	v_mul_f32_e32 v4, v89, v1
	v_fmac_f32_e32 v4, v88, v0
	v_mul_f32_e32 v0, v89, v0
	v_fma_f32 v0, v88, v1, -v0
	s_mov_b32 s1, 0x3f50ecf5
	v_cvt_f64_f32_e32 v[0:1], v0
	v_cvt_f64_f32_e32 v[4:5], v4
	v_mul_f64 v[0:1], v[0:1], s[0:1]
	v_mul_f64 v[4:5], v[4:5], s[0:1]
	v_cvt_f32_f64_e32 v9, v[0:1]
	v_mad_u64_u32 v[0:1], s[6:7], s4, v70, 0
	v_cvt_f32_f64_e32 v8, v[4:5]
	v_mov_b32_e32 v4, v1
	v_mad_u64_u32 v[10:11], s[6:7], s5, v70, v[4:5]
	ds_read2_b64 v[4:7], v52 offset0:96 offset1:228
	v_mov_b32_e32 v1, v10
	v_lshl_add_u64 v[10:11], v[46:47], 3, v[44:45]
	v_lshl_add_u64 v[0:1], v[0:1], 3, v[10:11]
	global_store_dwordx2 v[0:1], v[8:9], off
	s_waitcnt lgkmcnt(0)
	v_mul_f32_e32 v8, v87, v7
	v_fmac_f32_e32 v8, v86, v6
	v_mul_f32_e32 v6, v87, v6
	v_fma_f32 v6, v86, v7, -v6
	s_mul_i32 s6, s5, 0x1e4
	s_mul_hi_u32 s7, s4, 0x1e4
	v_cvt_f64_f32_e32 v[8:9], v8
	v_cvt_f64_f32_e32 v[6:7], v6
	s_add_i32 s7, s7, s6
	s_mul_i32 s6, s4, 0x1e4
	v_mul_f64 v[8:9], v[8:9], s[0:1]
	v_mul_f64 v[6:7], v[6:7], s[0:1]
	s_lshl_b64 s[8:9], s[6:7], 3
	v_cvt_f32_f64_e32 v8, v[8:9]
	v_cvt_f32_f64_e32 v9, v[6:7]
	v_lshl_add_u64 v[6:7], v[0:1], 0, s[8:9]
	v_mul_f32_e32 v0, v85, v3
	v_fmac_f32_e32 v0, v84, v2
	v_cvt_f64_f32_e32 v[0:1], v0
	v_mul_f64 v[0:1], v[0:1], s[0:1]
	global_store_dwordx2 v[6:7], v[8:9], off
	v_cvt_f32_f64_e32 v8, v[0:1]
	v_mul_f32_e32 v0, v85, v2
	v_fma_f32 v0, v84, v3, -v0
	v_cvt_f64_f32_e32 v[0:1], v0
	v_mul_f64 v[0:1], v[0:1], s[0:1]
	v_cvt_f32_f64_e32 v9, v[0:1]
	ds_read2_b64 v[0:3], v51 offset0:60 offset1:148
	s_mul_hi_u32 s10, s4, 0xfffffe74
	s_mulk_i32 s5, 0xfe74
	s_sub_i32 s10, s10, s4
	s_add_i32 s5, s10, s5
	s_mulk_i32 s4, 0xfe74
	s_lshl_b64 s[10:11], s[4:5], 3
	v_lshl_add_u64 v[10:11], v[6:7], 0, s[10:11]
	s_waitcnt lgkmcnt(0)
	v_mul_f32_e32 v6, v83, v1
	v_fmac_f32_e32 v6, v82, v0
	v_cvt_f64_f32_e32 v[6:7], v6
	v_mul_f64 v[6:7], v[6:7], s[0:1]
	global_store_dwordx2 v[10:11], v[8:9], off
	v_cvt_f32_f64_e32 v12, v[6:7]
	ds_read2_b64 v[6:9], v50 offset0:48 offset1:136
	v_mul_f32_e32 v0, v83, v0
	v_fma_f32 v0, v82, v1, -v0
	v_cvt_f64_f32_e32 v[0:1], v0
	v_mul_f64 v[0:1], v[0:1], s[0:1]
	v_cvt_f32_f64_e32 v13, v[0:1]
	v_lshl_add_u64 v[0:1], v[10:11], 0, s[8:9]
	s_waitcnt lgkmcnt(0)
	v_mul_f32_e32 v10, v79, v7
	v_fmac_f32_e32 v10, v78, v6
	v_mul_f32_e32 v6, v79, v6
	v_fma_f32 v6, v78, v7, -v6
	v_cvt_f64_f32_e32 v[10:11], v10
	v_cvt_f64_f32_e32 v[6:7], v6
	v_mul_f64 v[10:11], v[10:11], s[0:1]
	v_mul_f64 v[6:7], v[6:7], s[0:1]
	v_cvt_f32_f64_e32 v10, v[10:11]
	v_cvt_f32_f64_e32 v11, v[6:7]
	v_mul_f32_e32 v6, v77, v3
	global_store_dwordx2 v[0:1], v[12:13], off
	v_lshl_add_u64 v[0:1], v[0:1], 0, s[10:11]
	v_fmac_f32_e32 v6, v76, v2
	v_mul_f32_e32 v2, v77, v2
	global_store_dwordx2 v[0:1], v[10:11], off
	v_fma_f32 v2, v76, v3, -v2
	v_lshl_add_u64 v[10:11], v[0:1], 0, s[8:9]
	v_mul_f32_e32 v0, v75, v9
	v_cvt_f64_f32_e32 v[6:7], v6
	v_cvt_f64_f32_e32 v[2:3], v2
	v_fmac_f32_e32 v0, v74, v8
	v_mul_f64 v[6:7], v[6:7], s[0:1]
	v_mul_f64 v[2:3], v[2:3], s[0:1]
	v_cvt_f64_f32_e32 v[0:1], v0
	v_cvt_f32_f64_e32 v6, v[6:7]
	v_cvt_f32_f64_e32 v7, v[2:3]
	v_mul_f64 v[0:1], v[0:1], s[0:1]
	global_store_dwordx2 v[10:11], v[6:7], off
	v_cvt_f32_f64_e32 v6, v[0:1]
	v_mul_f32_e32 v0, v75, v8
	v_fma_f32 v0, v74, v9, -v0
	v_cvt_f64_f32_e32 v[8:9], v0
	ds_read2_b64 v[0:3], v49 offset0:108 offset1:196
	v_mul_f64 v[8:9], v[8:9], s[0:1]
	v_cvt_f32_f64_e32 v7, v[8:9]
	v_lshl_add_u64 v[8:9], v[10:11], 0, s[10:11]
	global_store_dwordx2 v[8:9], v[6:7], off
	s_waitcnt lgkmcnt(0)
	v_mul_f32_e32 v6, v73, v1
	v_fmac_f32_e32 v6, v72, v0
	v_mul_f32_e32 v0, v73, v0
	v_fma_f32 v0, v72, v1, -v0
	v_cvt_f64_f32_e32 v[6:7], v6
	v_cvt_f64_f32_e32 v[0:1], v0
	v_mul_f64 v[6:7], v[6:7], s[0:1]
	v_mul_f64 v[0:1], v[0:1], s[0:1]
	v_cvt_f32_f64_e32 v6, v[6:7]
	v_cvt_f32_f64_e32 v7, v[0:1]
	v_lshl_add_u64 v[0:1], v[8:9], 0, s[8:9]
	global_store_dwordx2 v[0:1], v[6:7], off
	v_mul_f32_e32 v6, v69, v5
	v_fmac_f32_e32 v6, v68, v4
	v_mul_f32_e32 v4, v69, v4
	v_fma_f32 v4, v68, v5, -v4
	v_cvt_f64_f32_e32 v[6:7], v6
	v_cvt_f64_f32_e32 v[4:5], v4
	v_mul_f64 v[6:7], v[6:7], s[0:1]
	v_mul_f64 v[4:5], v[4:5], s[0:1]
	v_cvt_f32_f64_e32 v6, v[6:7]
	v_cvt_f32_f64_e32 v7, v[4:5]
	v_mul_f32_e32 v4, v67, v3
	v_fmac_f32_e32 v4, v66, v2
	v_mul_f32_e32 v2, v67, v2
	v_fma_f32 v2, v66, v3, -v2
	v_cvt_f64_f32_e32 v[4:5], v4
	v_cvt_f64_f32_e32 v[2:3], v2
	v_lshl_add_u64 v[0:1], v[0:1], 0, s[10:11]
	v_mul_f64 v[4:5], v[4:5], s[0:1]
	v_mul_f64 v[2:3], v[2:3], s[0:1]
	s_movk_i32 s12, 0x1000
	global_store_dwordx2 v[0:1], v[6:7], off
	v_cvt_f32_f64_e32 v4, v[4:5]
	v_cvt_f32_f64_e32 v5, v[2:3]
	v_lshl_add_u64 v[0:1], v[0:1], 0, s[8:9]
	global_store_dwordx2 v[0:1], v[4:5], off
	s_and_b64 exec, exec, s[2:3]
	s_cbranch_execz .LBB0_31
; %bb.30:
	global_load_dwordx2 v[2:3], v[64:65], off offset:3520
	v_add_co_u32_e32 v4, vcc, s12, v64
	ds_read_b64 v[6:7], v81 offset:3520
	ds_read_b64 v[8:9], v81 offset:7392
	v_addc_co_u32_e32 v5, vcc, 0, v65, vcc
	global_load_dwordx2 v[4:5], v[4:5], off offset:3296
	v_lshl_add_u64 v[0:1], s[4:5], 3, v[0:1]
	s_waitcnt vmcnt(1) lgkmcnt(1)
	v_mul_f32_e32 v10, v7, v3
	v_mul_f32_e32 v3, v6, v3
	v_fmac_f32_e32 v10, v6, v2
	v_fma_f32 v6, v2, v7, -v3
	v_cvt_f64_f32_e32 v[2:3], v10
	v_cvt_f64_f32_e32 v[6:7], v6
	v_mul_f64 v[2:3], v[2:3], s[0:1]
	s_waitcnt vmcnt(0) lgkmcnt(0)
	v_mul_f32_e32 v10, v9, v5
	v_mul_f32_e32 v5, v8, v5
	v_mul_f64 v[6:7], v[6:7], s[0:1]
	v_fmac_f32_e32 v10, v8, v4
	v_fma_f32 v8, v4, v9, -v5
	v_cvt_f32_f64_e32 v2, v[2:3]
	v_cvt_f32_f64_e32 v3, v[6:7]
	v_cvt_f64_f32_e32 v[4:5], v10
	v_cvt_f64_f32_e32 v[6:7], v8
	global_store_dwordx2 v[0:1], v[2:3], off
	v_mul_f64 v[2:3], v[4:5], s[0:1]
	v_mul_f64 v[4:5], v[6:7], s[0:1]
	v_cvt_f32_f64_e32 v2, v[2:3]
	v_cvt_f32_f64_e32 v3, v[4:5]
	v_lshl_add_u64 v[0:1], s[6:7], 3, v[0:1]
	global_store_dwordx2 v[0:1], v[2:3], off
.LBB0_31:
	s_endpgm
	.section	.rodata,"a",@progbits
	.p2align	6, 0x0
	.amdhsa_kernel bluestein_single_fwd_len968_dim1_sp_op_CI_CI
		.amdhsa_group_segment_fixed_size 15488
		.amdhsa_private_segment_fixed_size 0
		.amdhsa_kernarg_size 104
		.amdhsa_user_sgpr_count 2
		.amdhsa_user_sgpr_dispatch_ptr 0
		.amdhsa_user_sgpr_queue_ptr 0
		.amdhsa_user_sgpr_kernarg_segment_ptr 1
		.amdhsa_user_sgpr_dispatch_id 0
		.amdhsa_user_sgpr_kernarg_preload_length 0
		.amdhsa_user_sgpr_kernarg_preload_offset 0
		.amdhsa_user_sgpr_private_segment_size 0
		.amdhsa_uses_dynamic_stack 0
		.amdhsa_enable_private_segment 0
		.amdhsa_system_sgpr_workgroup_id_x 1
		.amdhsa_system_sgpr_workgroup_id_y 0
		.amdhsa_system_sgpr_workgroup_id_z 0
		.amdhsa_system_sgpr_workgroup_info 0
		.amdhsa_system_vgpr_workitem_id 0
		.amdhsa_next_free_vgpr 198
		.amdhsa_next_free_sgpr 50
		.amdhsa_accum_offset 200
		.amdhsa_reserve_vcc 1
		.amdhsa_float_round_mode_32 0
		.amdhsa_float_round_mode_16_64 0
		.amdhsa_float_denorm_mode_32 3
		.amdhsa_float_denorm_mode_16_64 3
		.amdhsa_dx10_clamp 1
		.amdhsa_ieee_mode 1
		.amdhsa_fp16_overflow 0
		.amdhsa_tg_split 0
		.amdhsa_exception_fp_ieee_invalid_op 0
		.amdhsa_exception_fp_denorm_src 0
		.amdhsa_exception_fp_ieee_div_zero 0
		.amdhsa_exception_fp_ieee_overflow 0
		.amdhsa_exception_fp_ieee_underflow 0
		.amdhsa_exception_fp_ieee_inexact 0
		.amdhsa_exception_int_div_zero 0
	.end_amdhsa_kernel
	.text
.Lfunc_end0:
	.size	bluestein_single_fwd_len968_dim1_sp_op_CI_CI, .Lfunc_end0-bluestein_single_fwd_len968_dim1_sp_op_CI_CI
                                        ; -- End function
	.section	.AMDGPU.csdata,"",@progbits
; Kernel info:
; codeLenInByte = 14420
; NumSgprs: 56
; NumVgprs: 198
; NumAgprs: 0
; TotalNumVgprs: 198
; ScratchSize: 0
; MemoryBound: 0
; FloatMode: 240
; IeeeMode: 1
; LDSByteSize: 15488 bytes/workgroup (compile time only)
; SGPRBlocks: 6
; VGPRBlocks: 24
; NumSGPRsForWavesPerEU: 56
; NumVGPRsForWavesPerEU: 198
; AccumOffset: 200
; Occupancy: 2
; WaveLimiterHint : 1
; COMPUTE_PGM_RSRC2:SCRATCH_EN: 0
; COMPUTE_PGM_RSRC2:USER_SGPR: 2
; COMPUTE_PGM_RSRC2:TRAP_HANDLER: 0
; COMPUTE_PGM_RSRC2:TGID_X_EN: 1
; COMPUTE_PGM_RSRC2:TGID_Y_EN: 0
; COMPUTE_PGM_RSRC2:TGID_Z_EN: 0
; COMPUTE_PGM_RSRC2:TIDIG_COMP_CNT: 0
; COMPUTE_PGM_RSRC3_GFX90A:ACCUM_OFFSET: 49
; COMPUTE_PGM_RSRC3_GFX90A:TG_SPLIT: 0
	.text
	.p2alignl 6, 3212836864
	.fill 256, 4, 3212836864
	.type	__hip_cuid_c680c7786f96b024,@object ; @__hip_cuid_c680c7786f96b024
	.section	.bss,"aw",@nobits
	.globl	__hip_cuid_c680c7786f96b024
__hip_cuid_c680c7786f96b024:
	.byte	0                               ; 0x0
	.size	__hip_cuid_c680c7786f96b024, 1

	.ident	"AMD clang version 19.0.0git (https://github.com/RadeonOpenCompute/llvm-project roc-6.4.0 25133 c7fe45cf4b819c5991fe208aaa96edf142730f1d)"
	.section	".note.GNU-stack","",@progbits
	.addrsig
	.addrsig_sym __hip_cuid_c680c7786f96b024
	.amdgpu_metadata
---
amdhsa.kernels:
  - .agpr_count:     0
    .args:
      - .actual_access:  read_only
        .address_space:  global
        .offset:         0
        .size:           8
        .value_kind:     global_buffer
      - .actual_access:  read_only
        .address_space:  global
        .offset:         8
        .size:           8
        .value_kind:     global_buffer
      - .actual_access:  read_only
        .address_space:  global
        .offset:         16
        .size:           8
        .value_kind:     global_buffer
      - .actual_access:  read_only
        .address_space:  global
        .offset:         24
        .size:           8
        .value_kind:     global_buffer
      - .actual_access:  read_only
        .address_space:  global
        .offset:         32
        .size:           8
        .value_kind:     global_buffer
      - .offset:         40
        .size:           8
        .value_kind:     by_value
      - .address_space:  global
        .offset:         48
        .size:           8
        .value_kind:     global_buffer
      - .address_space:  global
        .offset:         56
        .size:           8
        .value_kind:     global_buffer
      - .address_space:  global
        .offset:         64
        .size:           8
        .value_kind:     global_buffer
      - .address_space:  global
        .offset:         72
        .size:           8
        .value_kind:     global_buffer
      - .offset:         80
        .size:           4
        .value_kind:     by_value
      - .address_space:  global
        .offset:         88
        .size:           8
        .value_kind:     global_buffer
      - .address_space:  global
        .offset:         96
        .size:           8
        .value_kind:     global_buffer
    .group_segment_fixed_size: 15488
    .kernarg_segment_align: 8
    .kernarg_segment_size: 104
    .language:       OpenCL C
    .language_version:
      - 2
      - 0
    .max_flat_workgroup_size: 176
    .name:           bluestein_single_fwd_len968_dim1_sp_op_CI_CI
    .private_segment_fixed_size: 0
    .sgpr_count:     56
    .sgpr_spill_count: 0
    .symbol:         bluestein_single_fwd_len968_dim1_sp_op_CI_CI.kd
    .uniform_work_group_size: 1
    .uses_dynamic_stack: false
    .vgpr_count:     198
    .vgpr_spill_count: 0
    .wavefront_size: 64
amdhsa.target:   amdgcn-amd-amdhsa--gfx950
amdhsa.version:
  - 1
  - 2
...

	.end_amdgpu_metadata
